;; amdgpu-corpus repo=ROCm/rocFFT kind=compiled arch=gfx1030 opt=O3
	.text
	.amdgcn_target "amdgcn-amd-amdhsa--gfx1030"
	.amdhsa_code_object_version 6
	.protected	bluestein_single_fwd_len1456_dim1_sp_op_CI_CI ; -- Begin function bluestein_single_fwd_len1456_dim1_sp_op_CI_CI
	.globl	bluestein_single_fwd_len1456_dim1_sp_op_CI_CI
	.p2align	8
	.type	bluestein_single_fwd_len1456_dim1_sp_op_CI_CI,@function
bluestein_single_fwd_len1456_dim1_sp_op_CI_CI: ; @bluestein_single_fwd_len1456_dim1_sp_op_CI_CI
; %bb.0:
	s_load_dwordx4 s[0:3], s[4:5], 0x28
	v_mul_u32_u24_e32 v1, 0x169, v0
	v_mov_b32_e32 v59, 0
	v_lshrrev_b32_e32 v1, 16, v1
	v_add_nc_u32_e32 v58, s6, v1
	s_waitcnt lgkmcnt(0)
	v_cmp_gt_u64_e32 vcc_lo, s[0:1], v[58:59]
	s_and_saveexec_b32 s0, vcc_lo
	s_cbranch_execz .LBB0_23
; %bb.1:
	v_mul_lo_u16 v1, 0xb6, v1
	s_clause 0x1
	s_load_dwordx2 s[14:15], s[4:5], 0x0
	s_load_dwordx2 s[12:13], s[4:5], 0x38
	v_sub_nc_u16 v0, v0, v1
	v_and_b32_e32 v89, 0xffff, v0
	v_cmp_gt_u16_e32 vcc_lo, 0x70, v0
	v_lshlrev_b32_e32 v87, 3, v89
	v_or_b32_e32 v88, 0x380, v89
	s_and_saveexec_b32 s1, vcc_lo
	s_cbranch_execz .LBB0_3
; %bb.2:
	s_load_dwordx2 s[6:7], s[4:5], 0x18
	s_waitcnt lgkmcnt(0)
	v_add_co_u32 v41, s0, s14, v87
	v_add_co_ci_u32_e64 v42, null, s15, 0, s0
	v_lshlrev_b32_e32 v25, 3, v88
	v_add_nc_u32_e32 v59, 0x1800, v87
	v_add_nc_u32_e32 v60, 0x2000, v87
	s_load_dwordx4 s[8:11], s[6:7], 0x0
	s_clause 0x3
	global_load_dwordx2 v[4:5], v87, s[14:15]
	global_load_dwordx2 v[6:7], v87, s[14:15] offset:896
	global_load_dwordx2 v[8:9], v87, s[14:15] offset:1792
	global_load_dwordx2 v[25:26], v25, s[14:15]
	s_waitcnt lgkmcnt(0)
	v_mad_u64_u32 v[0:1], null, s10, v58, 0
	v_mad_u64_u32 v[2:3], null, s8, v89, 0
	s_mul_i32 s6, s9, 0x380
	s_mul_hi_u32 s7, s8, 0x380
	s_mul_i32 s10, s8, 0x380
	s_add_i32 s7, s7, s6
	v_mad_u64_u32 v[10:11], null, s11, v58, v[1:2]
	v_add_co_u32 v11, s0, 0x800, v41
	v_add_co_ci_u32_e64 v12, s0, 0, v42, s0
	v_mov_b32_e32 v1, v10
	v_lshlrev_b64 v[0:1], 3, v[0:1]
	s_waitcnt vmcnt(3)
	v_mad_u64_u32 v[13:14], null, s9, v89, v[3:4]
	v_add_co_u32 v14, s0, 0x1000, v41
	v_add_co_ci_u32_e64 v15, s0, 0, v42, s0
	v_add_co_u32 v16, s0, 0x1800, v41
	v_mov_b32_e32 v3, v13
	v_add_co_ci_u32_e64 v17, s0, 0, v42, s0
	v_add_co_u32 v10, s0, s2, v0
	v_lshlrev_b64 v[2:3], 3, v[2:3]
	v_add_co_ci_u32_e64 v13, s0, s3, v1, s0
	v_mad_u64_u32 v[0:1], null, s8, v88, 0
	v_add_co_u32 v2, s0, v10, v2
	v_add_co_ci_u32_e64 v3, s0, v13, v3, s0
	v_add_co_u32 v18, s0, v2, s10
	v_add_co_ci_u32_e64 v19, s0, s7, v3, s0
	v_mad_u64_u32 v[22:23], null, s9, v88, v[1:2]
	v_add_co_u32 v20, s0, v18, s10
	v_add_co_ci_u32_e64 v21, s0, s7, v19, s0
	v_add_co_u32 v23, s0, v20, s10
	v_add_co_ci_u32_e64 v24, s0, s7, v21, s0
	v_mov_b32_e32 v1, v22
	v_add_co_u32 v27, s0, v23, s10
	v_add_co_ci_u32_e64 v28, s0, s7, v24, s0
	v_lshlrev_b64 v[0:1], 3, v[0:1]
	v_add_co_u32 v29, s0, v27, s10
	v_add_co_ci_u32_e64 v30, s0, s7, v28, s0
	v_add_co_u32 v31, s0, v29, s10
	v_add_co_ci_u32_e64 v32, s0, s7, v30, s0
	;; [unrolled: 2-line block ×3, first 2 shown]
	s_clause 0x2
	global_load_dwordx2 v[0:1], v[0:1], off
	global_load_dwordx2 v[2:3], v[2:3], off
	;; [unrolled: 1-line block ×3, first 2 shown]
	global_load_dwordx2 v[39:40], v[11:12], off offset:640
	s_clause 0x1
	global_load_dwordx2 v[20:21], v[20:21], off
	global_load_dwordx2 v[22:23], v[23:24], off
	global_load_dwordx2 v[11:12], v[11:12], off offset:1536
	global_load_dwordx2 v[27:28], v[27:28], off
	v_add_co_u32 v33, s0, v31, s10
	v_add_co_ci_u32_e64 v34, s0, s7, v32, s0
	v_add_co_u32 v37, s0, 0x2000, v41
	v_add_co_ci_u32_e64 v38, s0, 0, v42, s0
	v_mad_u64_u32 v[35:36], null, 0x700, s8, v[33:34]
	v_add_co_u32 v41, s0, 0x2800, v41
	v_add_co_ci_u32_e64 v42, s0, 0, v42, s0
	v_add_nc_u32_e32 v24, 0xc00, v87
	v_mov_b32_e32 v10, v36
	v_add_co_u32 v50, s0, v35, s10
	s_waitcnt vmcnt(6)
	v_mul_f32_e32 v56, v3, v5
	s_waitcnt vmcnt(5)
	v_mul_f32_e32 v61, v18, v7
	s_waitcnt vmcnt(1)
	v_mad_u64_u32 v[43:44], null, 0x700, s9, v[10:11]
	s_clause 0x4
	global_load_dwordx2 v[44:45], v[14:15], off offset:384
	global_load_dwordx2 v[13:14], v[14:15], off offset:1280
	;; [unrolled: 1-line block ×5, first 2 shown]
	global_load_dwordx2 v[29:30], v[29:30], off
	global_load_dwordx2 v[31:32], v[31:32], off
	;; [unrolled: 1-line block ×3, first 2 shown]
	v_mul_f32_e32 v10, v2, v5
	v_mul_f32_e32 v5, v1, v26
	;; [unrolled: 1-line block ×3, first 2 shown]
	v_fmac_f32_e32 v56, v2, v4
	v_mov_b32_e32 v36, v43
	v_fma_f32 v57, v3, v4, -v10
	v_mul_f32_e32 v2, v19, v7
	v_fmac_f32_e32 v5, v0, v25
	v_mul_f32_e32 v7, v21, v9
	v_add_co_ci_u32_e64 v51, s0, s7, v36, s0
	v_add_co_u32 v52, s0, v50, s10
	global_load_dwordx2 v[35:36], v[35:36], off
	v_add_co_ci_u32_e64 v53, s0, s7, v51, s0
	v_add_co_u32 v54, s0, v52, s10
	global_load_dwordx2 v[50:51], v[50:51], off
	v_add_co_ci_u32_e64 v55, s0, s7, v53, s0
	global_load_dwordx2 v[37:38], v[37:38], off offset:1664
	global_load_dwordx2 v[52:53], v[52:53], off
	global_load_dwordx2 v[41:42], v[41:42], off offset:512
	global_load_dwordx2 v[54:55], v[54:55], off
	v_mul_f32_e32 v0, v20, v9
	v_mul_f32_e32 v4, v22, v40
	;; [unrolled: 1-line block ×3, first 2 shown]
	v_add_nc_u32_e32 v17, 0x400, v87
	v_fma_f32 v3, v19, v6, -v61
	v_fmac_f32_e32 v2, v18, v6
	v_fmac_f32_e32 v7, v20, v8
	v_fma_f32 v8, v21, v8, -v0
	v_fma_f32 v10, v23, v39, -v4
	v_fmac_f32_e32 v9, v22, v39
	s_waitcnt vmcnt(14)
	v_mul_f32_e32 v0, v28, v12
	v_fma_f32 v6, v1, v25, -v26
	v_mul_f32_e32 v1, v27, v12
	ds_write2_b64 v87, v[56:57], v[2:3] offset1:112
	ds_write2_b64 v17, v[7:8], v[9:10] offset0:96 offset1:208
	v_fmac_f32_e32 v0, v27, v11
	v_add_nc_u32_e32 v43, 0x1400, v87
	v_fma_f32 v1, v28, v11, -v1
	s_waitcnt vmcnt(8)
	v_mul_f32_e32 v2, v30, v45
	s_waitcnt vmcnt(7)
	v_mul_f32_e32 v4, v31, v14
	v_mul_f32_e32 v7, v32, v14
	;; [unrolled: 1-line block ×3, first 2 shown]
	s_waitcnt vmcnt(6)
	v_mul_f32_e32 v9, v34, v47
	v_fmac_f32_e32 v2, v29, v44
	v_fma_f32 v8, v32, v13, -v4
	v_mul_f32_e32 v4, v33, v47
	v_fmac_f32_e32 v7, v31, v13
	v_fma_f32 v3, v30, v44, -v3
	v_fmac_f32_e32 v9, v33, v46
	v_fma_f32 v10, v34, v46, -v4
	s_waitcnt vmcnt(5)
	v_mul_f32_e32 v11, v36, v16
	v_mul_f32_e32 v12, v35, v16
	s_waitcnt vmcnt(4)
	v_mul_f32_e32 v13, v51, v49
	v_fmac_f32_e32 v11, v35, v15
	v_fma_f32 v12, v36, v15, -v12
	v_mul_f32_e32 v4, v50, v49
	s_waitcnt vmcnt(2)
	v_mul_f32_e32 v15, v53, v38
	v_mul_f32_e32 v16, v52, v38
	s_waitcnt vmcnt(0)
	v_mul_f32_e32 v17, v55, v42
	v_mul_f32_e32 v18, v54, v42
	v_fmac_f32_e32 v13, v50, v48
	v_fma_f32 v14, v51, v48, -v4
	v_fmac_f32_e32 v15, v52, v37
	v_fma_f32 v16, v53, v37, -v16
	v_fmac_f32_e32 v17, v54, v41
	v_fma_f32 v18, v55, v41, -v18
	ds_write2_b64 v24, v[0:1], v[2:3] offset0:64 offset1:176
	ds_write2_b64 v43, v[7:8], v[9:10] offset0:32 offset1:144
	;; [unrolled: 1-line block ×4, first 2 shown]
	ds_write_b64 v87, v[17:18] offset:10752
.LBB0_3:
	s_or_b32 exec_lo, exec_lo, s1
	s_clause 0x1
	s_load_dwordx2 s[0:1], s[4:5], 0x20
	s_load_dwordx2 s[2:3], s[4:5], 0x8
	v_mov_b32_e32 v0, 0
	v_mov_b32_e32 v1, 0
	s_waitcnt lgkmcnt(0)
	s_barrier
	buffer_gl0_inv
                                        ; implicit-def: $vgpr4
                                        ; implicit-def: $vgpr24
                                        ; implicit-def: $vgpr10
                                        ; implicit-def: $vgpr14
                                        ; implicit-def: $vgpr18
                                        ; implicit-def: $vgpr22
	s_and_saveexec_b32 s4, vcc_lo
	s_cbranch_execz .LBB0_5
; %bb.4:
	v_add_nc_u32_e32 v4, 0x400, v87
	v_add_nc_u32_e32 v5, 0xc00, v87
	;; [unrolled: 1-line block ×5, first 2 shown]
	ds_read2_b64 v[0:3], v87 offset1:112
	ds_read2_b64 v[20:23], v4 offset0:96 offset1:208
	ds_read2_b64 v[16:19], v5 offset0:64 offset1:176
	;; [unrolled: 1-line block ×5, first 2 shown]
	ds_read_b64 v[24:25], v87 offset:10752
.LBB0_5:
	s_or_b32 exec_lo, exec_lo, s4
	s_waitcnt lgkmcnt(0)
	v_sub_f32_e32 v75, v3, v25
	v_sub_f32_e32 v64, v2, v24
	v_add_f32_e32 v43, v24, v2
	v_add_f32_e32 v44, v25, v3
	v_sub_f32_e32 v82, v21, v7
	v_mul_f32_e32 v26, 0xbeedf032, v75
	v_mul_f32_e32 v27, 0xbeedf032, v64
	v_sub_f32_e32 v72, v20, v6
	v_add_f32_e32 v42, v6, v20
	v_add_f32_e32 v45, v7, v21
	v_fmamk_f32 v30, v43, 0x3f62ad3f, v26
	v_fma_f32 v31, 0x3f62ad3f, v44, -v27
	v_mul_f32_e32 v28, 0xbf52af12, v82
	v_mul_f32_e32 v29, 0xbf52af12, v72
	v_sub_f32_e32 v85, v23, v5
	v_add_f32_e32 v32, v30, v0
	v_add_f32_e32 v33, v31, v1
	v_fmamk_f32 v31, v42, 0x3f116cb1, v28
	v_fma_f32 v34, 0x3f116cb1, v45, -v29
	v_sub_f32_e32 v76, v22, v4
	v_add_f32_e32 v46, v4, v22
	v_mul_f32_e32 v30, 0xbf7e222b, v85
	v_sub_f32_e32 v96, v17, v11
	v_add_f32_e32 v32, v31, v32
	v_add_f32_e32 v47, v5, v23
	v_mul_f32_e32 v31, 0xbf7e222b, v76
	v_add_f32_e32 v33, v34, v33
	v_fmamk_f32 v36, v46, 0x3df6dbef, v30
	v_sub_f32_e32 v83, v16, v10
	v_add_f32_e32 v49, v10, v16
	v_mul_f32_e32 v34, 0xbf6f5d39, v96
	v_sub_f32_e32 v98, v19, v9
	v_fma_f32 v37, 0x3df6dbef, v47, -v31
	v_add_f32_e32 v56, v11, v17
	v_mul_f32_e32 v35, 0xbf6f5d39, v83
	v_add_f32_e32 v32, v36, v32
	v_fmamk_f32 v36, v49, 0xbeb58ec6, v34
	v_sub_f32_e32 v95, v18, v8
	v_add_f32_e32 v62, v8, v18
	v_mul_f32_e32 v38, 0xbf29c268, v98
	v_add_f32_e32 v33, v37, v33
	v_fma_f32 v37, 0xbeb58ec6, v56, -v35
	v_add_f32_e32 v65, v9, v19
	v_mul_f32_e32 v39, 0xbf29c268, v95
	v_add_f32_e32 v32, v36, v32
	v_fmamk_f32 v36, v62, 0xbf3f9e67, v38
	v_mul_f32_e32 v59, 0xbf52af12, v75
	v_add_f32_e32 v33, v37, v33
	v_fma_f32 v37, 0xbf3f9e67, v65, -v39
	v_mul_f32_e32 v60, 0xbf6f5d39, v82
	v_add_f32_e32 v32, v36, v32
	v_fmamk_f32 v36, v43, 0x3f116cb1, v59
	v_mul_f32_e32 v67, 0xbf52af12, v64
	v_add_f32_e32 v33, v37, v33
	v_sub_f32_e32 v105, v13, v15
	v_fmamk_f32 v37, v42, 0xbeb58ec6, v60
	v_add_f32_e32 v36, v36, v0
	v_fma_f32 v48, 0x3f116cb1, v44, -v67
	v_mul_f32_e32 v70, 0xbf6f5d39, v72
	v_mul_f32_e32 v61, 0xbe750f2a, v85
	v_add_f32_e32 v73, v14, v12
	v_mul_f32_e32 v40, 0xbe750f2a, v105
	v_add_f32_e32 v36, v37, v36
	v_add_f32_e32 v37, v48, v1
	v_fma_f32 v48, 0xbeb58ec6, v45, -v70
	v_fmamk_f32 v51, v46, 0xbf788fa5, v61
	v_mul_f32_e32 v66, 0xbe750f2a, v76
	v_mul_f32_e32 v63, 0x3f29c268, v96
	v_sub_f32_e32 v99, v12, v14
	v_fmamk_f32 v50, v73, 0xbf788fa5, v40
	v_add_f32_e32 v37, v48, v37
	v_add_f32_e32 v36, v51, v36
	v_fma_f32 v51, 0xbf788fa5, v47, -v66
	v_fmamk_f32 v53, v49, 0xbf3f9e67, v63
	v_mul_f32_e32 v68, 0x3f29c268, v83
	v_mul_f32_e32 v48, 0x3f7e222b, v98
	v_add_f32_e32 v74, v15, v13
	v_mul_f32_e32 v41, 0xbe750f2a, v99
	v_add_f32_e32 v32, v50, v32
	v_add_f32_e32 v37, v51, v37
	v_add_f32_e32 v36, v53, v36
	v_fma_f32 v50, 0xbf3f9e67, v56, -v68
	v_fmamk_f32 v51, v62, 0x3df6dbef, v48
	v_mul_f32_e32 v71, 0x3f7e222b, v95
	v_mul_f32_e32 v80, 0xbf7e222b, v75
	v_fma_f32 v52, 0xbf788fa5, v74, -v41
	v_add_f32_e32 v37, v50, v37
	v_add_f32_e32 v36, v51, v36
	v_fma_f32 v50, 0x3df6dbef, v65, -v71
	v_mul_f32_e32 v57, 0x3eedf032, v105
	v_fmamk_f32 v51, v43, 0x3df6dbef, v80
	v_mul_f32_e32 v81, 0xbe750f2a, v82
	v_mul_f32_e32 v86, 0xbf7e222b, v64
	v_add_f32_e32 v33, v52, v33
	v_add_f32_e32 v37, v50, v37
	v_fmamk_f32 v50, v73, 0x3f62ad3f, v57
	v_add_f32_e32 v51, v51, v0
	v_fmamk_f32 v52, v42, 0xbf788fa5, v81
	v_fma_f32 v53, 0x3df6dbef, v44, -v86
	v_mul_f32_e32 v91, 0xbe750f2a, v72
	v_mul_f32_e32 v79, 0x3f6f5d39, v85
	v_add_f32_e32 v50, v50, v36
	v_add_f32_e32 v36, v52, v51
	;; [unrolled: 1-line block ×3, first 2 shown]
	v_fma_f32 v52, 0xbf788fa5, v45, -v91
	v_fmamk_f32 v53, v46, 0xbeb58ec6, v79
	v_mul_f32_e32 v92, 0x3f6f5d39, v76
	v_mul_f32_e32 v77, 0x3eedf032, v96
	;; [unrolled: 1-line block ×3, first 2 shown]
	v_add_f32_e32 v51, v52, v51
	v_add_f32_e32 v36, v53, v36
	v_fma_f32 v52, 0xbeb58ec6, v47, -v92
	v_fmamk_f32 v53, v49, 0x3f62ad3f, v77
	v_mul_f32_e32 v94, 0x3eedf032, v83
	v_mul_f32_e32 v78, 0xbf52af12, v98
	v_fma_f32 v54, 0x3f62ad3f, v74, -v69
	v_add_f32_e32 v52, v52, v51
	v_add_f32_e32 v36, v53, v36
	v_fma_f32 v53, 0x3f62ad3f, v56, -v94
	v_mul_f32_e32 v93, 0xbf52af12, v95
	v_mul_f32_e32 v101, 0xbf6f5d39, v75
	v_fmamk_f32 v55, v62, 0x3f116cb1, v78
	v_add_f32_e32 v51, v54, v37
	v_add_f32_e32 v37, v53, v52
	v_fma_f32 v52, 0x3f116cb1, v65, -v93
	v_mul_f32_e32 v84, 0xbf29c268, v105
	v_fmamk_f32 v53, v43, 0xbeb58ec6, v101
	v_mul_f32_e32 v102, 0x3f29c268, v82
	v_mul_f32_e32 v108, 0xbf6f5d39, v64
	v_add_f32_e32 v36, v55, v36
	v_add_f32_e32 v37, v52, v37
	v_fmamk_f32 v52, v73, 0xbf3f9e67, v84
	v_add_f32_e32 v53, v53, v0
	v_fmamk_f32 v54, v42, 0xbf3f9e67, v102
	v_fma_f32 v55, 0xbeb58ec6, v44, -v108
	v_mul_f32_e32 v110, 0x3f29c268, v72
	v_mul_f32_e32 v103, 0x3eedf032, v85
	v_add_f32_e32 v52, v52, v36
	v_add_f32_e32 v36, v54, v53
	;; [unrolled: 1-line block ×3, first 2 shown]
	v_fma_f32 v54, 0xbf3f9e67, v45, -v110
	v_fmamk_f32 v55, v46, 0x3f62ad3f, v103
	v_mul_f32_e32 v111, 0x3eedf032, v76
	v_mul_f32_e32 v104, 0xbf7e222b, v96
	;; [unrolled: 1-line block ×3, first 2 shown]
	v_add_f32_e32 v53, v54, v53
	v_add_f32_e32 v36, v55, v36
	v_fma_f32 v54, 0x3f62ad3f, v47, -v111
	v_fmamk_f32 v55, v49, 0x3df6dbef, v104
	v_mul_f32_e32 v100, 0x3e750f2a, v98
	v_mul_f32_e32 v109, 0x3e750f2a, v95
	;; [unrolled: 1-line block ×3, first 2 shown]
	v_add_f32_e32 v53, v54, v53
	v_fma_f32 v54, 0x3df6dbef, v56, -v107
	v_add_f32_e32 v36, v55, v36
	v_fmamk_f32 v55, v62, 0xbf788fa5, v100
	v_mul_f32_e32 v121, 0xbf29c268, v64
	v_mul_f32_e32 v117, 0x3f7e222b, v82
	v_add_f32_e32 v53, v54, v53
	v_fma_f32 v54, 0xbf788fa5, v65, -v109
	v_add_f32_e32 v36, v55, v36
	v_fmamk_f32 v55, v43, 0xbf3f9e67, v115
	v_fma_f32 v106, 0xbf3f9e67, v44, -v121
	v_mul_f32_e32 v123, 0x3f7e222b, v72
	v_add_f32_e32 v125, v54, v53
	v_fmamk_f32 v54, v42, 0x3df6dbef, v117
	v_add_f32_e32 v53, v55, v0
	v_add_f32_e32 v55, v106, v1
	v_fma_f32 v112, 0x3df6dbef, v45, -v123
	v_mul_f32_e32 v118, 0xbf52af12, v85
	v_mul_f32_e32 v124, 0xbf52af12, v76
	v_add_f32_e32 v53, v54, v53
	v_mul_f32_e32 v114, 0x3e750f2a, v96
	v_add_f32_e32 v54, v112, v55
	v_fmamk_f32 v55, v46, 0x3f116cb1, v118
	v_fma_f32 v112, 0x3f116cb1, v47, -v124
	v_mul_f32_e32 v119, 0x3e750f2a, v83
	v_mul_f32_e32 v116, 0x3eedf032, v98
	;; [unrolled: 1-line block ×3, first 2 shown]
	v_add_f32_e32 v53, v55, v53
	v_add_f32_e32 v54, v112, v54
	v_fmamk_f32 v55, v49, 0xbf788fa5, v114
	v_fma_f32 v113, 0xbf788fa5, v56, -v119
	v_mul_f32_e32 v97, 0xbf29c268, v99
	v_mul_f32_e32 v106, 0x3f52af12, v105
	v_mul_f32_e32 v112, 0x3f52af12, v99
	v_add_f32_e32 v53, v55, v53
	v_add_f32_e32 v54, v113, v54
	v_fmamk_f32 v55, v62, 0x3f62ad3f, v116
	v_fma_f32 v127, 0x3f62ad3f, v65, -v120
	v_mul_f32_e32 v113, 0xbf6f5d39, v105
	v_mul_f32_e32 v122, 0xbf6f5d39, v99
	v_fma_f32 v90, 0xbf3f9e67, v74, -v97
	v_fmamk_f32 v126, v73, 0x3f116cb1, v106
	v_fma_f32 v128, 0x3f116cb1, v74, -v112
	v_add_f32_e32 v129, v55, v53
	v_add_f32_e32 v127, v127, v54
	v_fmamk_f32 v130, v73, 0xbeb58ec6, v113
	v_fma_f32 v131, 0xbeb58ec6, v74, -v122
	v_add_f32_e32 v53, v90, v37
	v_add_f32_e32 v54, v126, v36
	;; [unrolled: 1-line block ×5, first 2 shown]
	v_mul_lo_u16 v90, v89, 13
	s_barrier
	buffer_gl0_inv
	s_and_saveexec_b32 s4, vcc_lo
	s_cbranch_execz .LBB0_7
; %bb.6:
	v_mul_f32_e32 v125, 0xbf788fa5, v44
	v_mul_f32_e32 v126, 0x3f62ad3f, v45
	;; [unrolled: 1-line block ×5, first 2 shown]
	v_fmamk_f32 v128, v64, 0x3e750f2a, v125
	v_fmamk_f32 v130, v72, 0xbeedf032, v126
	;; [unrolled: 1-line block ×3, first 2 shown]
	v_mul_f32_e32 v85, 0xbf29c268, v85
	v_mul_f32_e32 v129, 0x3f116cb1, v56
	v_add_f32_e32 v128, v128, v1
	v_fmamk_f32 v132, v42, 0x3f62ad3f, v82
	v_fmamk_f32 v133, v76, 0x3f29c268, v127
	v_add_f32_e32 v131, v131, v0
	v_mul_f32_e32 v96, 0x3f52af12, v96
	v_add_f32_e32 v128, v130, v128
	v_mul_f32_e32 v130, 0xbeb58ec6, v65
	v_fmamk_f32 v134, v46, 0xbf3f9e67, v85
	v_fmamk_f32 v135, v83, 0xbf52af12, v129
	v_add_f32_e32 v131, v132, v131
	v_add_f32_e32 v128, v133, v128
	v_fmac_f32_e32 v125, 0xbe750f2a, v64
	v_fmamk_f32 v132, v49, 0x3f116cb1, v96
	v_fmamk_f32 v133, v95, 0x3f6f5d39, v130
	v_add_f32_e32 v64, v134, v131
	v_add_f32_e32 v128, v135, v128
	v_mul_f32_e32 v98, 0xbf6f5d39, v98
	v_fmac_f32_e32 v126, 0x3eedf032, v72
	v_add_f32_e32 v72, v125, v1
	v_add_f32_e32 v64, v132, v64
	;; [unrolled: 1-line block ×3, first 2 shown]
	v_fmamk_f32 v128, v62, 0xbeb58ec6, v98
	v_mul_f32_e32 v105, 0x3f7e222b, v105
	v_add_f32_e32 v72, v126, v72
	v_fmac_f32_e32 v127, 0xbf29c268, v76
	v_fma_f32 v75, 0xbf788fa5, v43, -v75
	v_add_f32_e32 v64, v128, v64
	v_fmamk_f32 v126, v73, 0x3df6dbef, v105
	v_fmac_f32_e32 v129, 0x3f52af12, v83
	v_add_f32_e32 v72, v127, v72
	v_add_f32_e32 v83, v75, v0
	v_fma_f32 v82, 0x3f62ad3f, v42, -v82
	v_add_f32_e32 v75, v126, v64
	v_mul_f32_e32 v131, 0x3df6dbef, v74
	v_add_f32_e32 v64, v129, v72
	v_fmac_f32_e32 v130, 0xbf6f5d39, v95
	v_add_f32_e32 v72, v82, v83
	v_fma_f32 v82, 0xbf3f9e67, v46, -v85
	v_mul_f32_e32 v85, 0xbf3f9e67, v44
	v_mul_f32_e32 v95, 0x3df6dbef, v45
	v_fma_f32 v96, 0x3f116cb1, v49, -v96
	v_fmamk_f32 v76, v99, 0xbf7e222b, v131
	v_add_f32_e32 v72, v82, v72
	v_add_f32_e32 v85, v121, v85
	;; [unrolled: 1-line block ×3, first 2 shown]
	v_fmac_f32_e32 v131, 0x3f7e222b, v99
	v_mul_f32_e32 v99, 0x3f116cb1, v47
	v_add_f32_e32 v72, v96, v72
	v_add_f32_e32 v85, v85, v1
	v_fma_f32 v98, 0xbeb58ec6, v62, -v98
	v_mul_f32_e32 v83, 0x3f62ad3f, v43
	v_mul_f32_e32 v121, 0x3f116cb1, v43
	;; [unrolled: 1-line block ×3, first 2 shown]
	v_add_f32_e32 v85, v95, v85
	v_add_f32_e32 v99, v124, v99
	v_mul_f32_e32 v124, 0xbeb58ec6, v43
	v_mul_f32_e32 v43, 0xbf3f9e67, v43
	v_add_f32_e32 v72, v98, v72
	v_mul_f32_e32 v98, 0xbf788fa5, v56
	v_add_f32_e32 v85, v99, v85
	v_mul_f32_e32 v99, 0x3df6dbef, v42
	v_sub_f32_e32 v43, v43, v115
	v_mul_f32_e32 v82, 0x3f62ad3f, v44
	v_add_f32_e32 v98, v119, v98
	v_mul_f32_e32 v119, 0x3f62ad3f, v65
	v_sub_f32_e32 v99, v99, v117
	v_add_f32_e32 v43, v43, v0
	v_mul_f32_e32 v123, 0x3f116cb1, v44
	v_add_f32_e32 v85, v98, v85
	v_mul_f32_e32 v98, 0x3f116cb1, v46
	v_add_f32_e32 v119, v120, v119
	v_add_f32_e32 v43, v99, v43
	v_mul_f32_e32 v95, 0x3df6dbef, v44
	v_mul_f32_e32 v44, 0xbeb58ec6, v44
	v_sub_f32_e32 v98, v98, v118
	v_mul_f32_e32 v115, 0x3f116cb1, v42
	v_mul_f32_e32 v120, 0xbeb58ec6, v42
	;; [unrolled: 1-line block ×3, first 2 shown]
	v_add_f32_e32 v85, v119, v85
	v_add_f32_e32 v43, v98, v43
	v_mul_f32_e32 v98, 0xbf788fa5, v49
	v_mul_f32_e32 v119, 0xbf788fa5, v42
	;; [unrolled: 1-line block ×3, first 2 shown]
	v_sub_f32_e32 v101, v124, v101
	v_mul_f32_e32 v117, 0x3f116cb1, v45
	v_sub_f32_e32 v98, v98, v114
	v_mul_f32_e32 v114, 0x3f62ad3f, v62
	v_mul_f32_e32 v118, 0xbeb58ec6, v45
	v_add_f32_e32 v99, v122, v99
	v_mul_f32_e32 v122, 0xbf788fa5, v45
	v_add_f32_e32 v43, v98, v43
	v_mul_f32_e32 v98, 0x3f62ad3f, v47
	v_mul_f32_e32 v45, 0xbf3f9e67, v45
	v_add_f32_e32 v44, v108, v44
	v_mul_f32_e32 v108, 0x3df6dbef, v46
	v_sub_f32_e32 v114, v114, v116
	v_mul_f32_e32 v116, 0xbf788fa5, v46
	v_add_f32_e32 v98, v111, v98
	v_mul_f32_e32 v111, 0xbeb58ec6, v46
	v_mul_f32_e32 v46, 0x3f62ad3f, v46
	v_sub_f32_e32 v42, v42, v102
	v_add_f32_e32 v101, v101, v0
	v_add_f32_e32 v45, v110, v45
	;; [unrolled: 1-line block ×3, first 2 shown]
	v_sub_f32_e32 v46, v46, v103
	v_add_f32_e32 v43, v114, v43
	v_add_f32_e32 v42, v42, v101
	v_mul_f32_e32 v114, 0x3df6dbef, v56
	v_add_f32_e32 v44, v45, v44
	v_mul_f32_e32 v110, 0x3df6dbef, v47
	v_mul_f32_e32 v45, 0xbf788fa5, v47
	v_add_f32_e32 v42, v46, v42
	v_add_f32_e32 v46, v86, v95
	v_mul_f32_e32 v47, 0xbeb58ec6, v47
	v_add_f32_e32 v44, v98, v44
	v_add_f32_e32 v107, v107, v114
	;; [unrolled: 3-line block ×3, first 2 shown]
	v_add_f32_e32 v3, v3, v1
	v_add_f32_e32 v2, v2, v0
	v_mul_f32_e32 v98, 0xbeb58ec6, v49
	v_mul_f32_e32 v124, 0xbeb58ec6, v56
	;; [unrolled: 1-line block ×3, first 2 shown]
	v_add_f32_e32 v44, v107, v44
	v_mul_f32_e32 v107, 0xbf3f9e67, v56
	v_add_f32_e32 v109, v109, v114
	v_mul_f32_e32 v114, 0x3f62ad3f, v49
	v_mul_f32_e32 v56, 0x3f62ad3f, v56
	;; [unrolled: 1-line block ×3, first 2 shown]
	v_add_f32_e32 v46, v86, v46
	v_add_f32_e32 v47, v92, v47
	;; [unrolled: 1-line block ×4, first 2 shown]
	v_mul_f32_e32 v101, 0xbeb58ec6, v73
	v_add_f32_e32 v109, v109, v44
	v_sub_f32_e32 v44, v49, v104
	v_mul_f32_e32 v49, 0x3f116cb1, v65
	v_add_f32_e32 v47, v47, v46
	v_add_f32_e32 v56, v94, v56
	v_add_f32_e32 v3, v23, v3
	v_add_f32_e32 v20, v22, v20
	v_sub_f32_e32 v101, v101, v113
	v_mul_f32_e32 v113, 0xbf3f9e67, v65
	v_mul_f32_e32 v126, 0x3df6dbef, v65
	;; [unrolled: 1-line block ×6, first 2 shown]
	v_add_f32_e32 v47, v56, v47
	v_add_f32_e32 v49, v93, v49
	;; [unrolled: 1-line block ×12, first 2 shown]
	v_sub_f32_e32 v64, v96, v80
	v_add_f32_e32 v67, v67, v123
	v_add_f32_e32 v49, v49, v47
	v_sub_f32_e32 v47, v121, v59
	v_add_f32_e32 v22, v27, v82
	v_sub_f32_e32 v17, v83, v26
	v_add_f32_e32 v3, v13, v3
	v_add_f32_e32 v12, v12, v16
	;; [unrolled: 1-line block ×3, first 2 shown]
	v_sub_f32_e32 v64, v119, v81
	v_add_f32_e32 v67, v67, v1
	v_add_f32_e32 v47, v47, v0
	;; [unrolled: 1-line block ×5, first 2 shown]
	v_sub_f32_e32 v17, v115, v28
	v_add_f32_e32 v3, v15, v3
	v_add_f32_e32 v12, v14, v12
	;; [unrolled: 1-line block ×3, first 2 shown]
	v_sub_f32_e32 v64, v111, v79
	v_add_f32_e32 v70, v70, v118
	v_sub_f32_e32 v60, v120, v60
	v_add_f32_e32 v1, v20, v1
	v_add_f32_e32 v13, v31, v110
	;; [unrolled: 1-line block ×3, first 2 shown]
	v_sub_f32_e32 v16, v108, v30
	v_add_f32_e32 v3, v9, v3
	v_add_f32_e32 v8, v8, v12
	;; [unrolled: 1-line block ×6, first 2 shown]
	v_sub_f32_e32 v60, v116, v61
	v_mul_f32_e32 v103, 0xbf3f9e67, v62
	v_add_f32_e32 v1, v13, v1
	v_add_f32_e32 v13, v35, v124
	;; [unrolled: 1-line block ×3, first 2 shown]
	v_sub_f32_e32 v9, v98, v34
	v_add_f32_e32 v3, v11, v3
	v_add_f32_e32 v8, v10, v8
	;; [unrolled: 1-line block ×3, first 2 shown]
	v_mul_f32_e32 v125, 0x3df6dbef, v62
	v_mul_f32_e32 v104, 0x3f116cb1, v62
	v_sub_f32_e32 v59, v114, v77
	v_add_f32_e32 v45, v45, v64
	v_add_f32_e32 v64, v68, v107
	;; [unrolled: 1-line block ×3, first 2 shown]
	v_sub_f32_e32 v60, v102, v63
	v_mul_f32_e32 v62, 0xbf788fa5, v62
	v_mul_f32_e32 v91, 0xbf788fa5, v73
	v_add_f32_e32 v1, v13, v1
	v_add_f32_e32 v12, v39, v113
	;; [unrolled: 1-line block ×3, first 2 shown]
	v_sub_f32_e32 v9, v103, v38
	v_add_f32_e32 v3, v5, v3
	v_add_f32_e32 v4, v4, v8
	v_mul_f32_e32 v122, 0x3f62ad3f, v73
	v_mul_f32_e32 v92, 0xbf3f9e67, v73
	v_add_f32_e32 v56, v59, v56
	v_sub_f32_e32 v59, v104, v78
	v_add_f32_e32 v45, v64, v45
	v_add_f32_e32 v61, v71, v126
	v_add_f32_e32 v47, v60, v47
	v_sub_f32_e32 v21, v125, v48
	v_fma_f32 v105, 0x3df6dbef, v73, -v105
	v_mul_f32_e32 v73, 0x3f116cb1, v73
	v_sub_f32_e32 v62, v62, v100
	v_add_f32_e32 v1, v12, v1
	v_add_f32_e32 v5, v41, v95
	;; [unrolled: 1-line block ×3, first 2 shown]
	v_sub_f32_e32 v8, v91, v40
	v_add_f32_e32 v7, v7, v3
	v_add_f32_e32 v9, v6, v4
	v_mov_b32_e32 v10, 3
	v_add_f32_e32 v56, v59, v56
	v_sub_f32_e32 v59, v92, v84
	v_add_f32_e32 v45, v61, v45
	v_add_f32_e32 v61, v69, v86
	;; [unrolled: 1-line block ×3, first 2 shown]
	v_sub_f32_e32 v23, v122, v57
	v_add_f32_e32 v46, v65, v109
	v_add_f32_e32 v62, v62, v112
	v_sub_f32_e32 v65, v73, v106
	v_add_f32_e32 v4, v5, v1
	v_add_f32_e32 v3, v8, v0
	v_add_f32_e32 v6, v25, v7
	v_add_f32_e32 v5, v24, v9
	v_lshlrev_b32_sdwa v0, v10, v90 dst_sel:DWORD dst_unused:UNUSED_PAD src0_sel:DWORD src1_sel:WORD_0
	v_add_f32_e32 v48, v59, v56
	v_add_f32_e32 v2, v61, v45
	;; [unrolled: 1-line block ×7, first 2 shown]
	ds_write2_b64 v0, v[5:6], v[3:4] offset1:1
	ds_write2_b64 v0, v[1:2], v[48:49] offset0:2 offset1:3
	ds_write2_b64 v0, v[45:46], v[43:44] offset0:4 offset1:5
	;; [unrolled: 1-line block ×5, first 2 shown]
	ds_write_b64 v0, v[32:33] offset:96
.LBB0_7:
	s_or_b32 exec_lo, exec_lo, s4
	v_and_b32_e32 v1, 0xff, v89
	v_add_nc_u16 v0, v89, 0xb6
	v_mov_b32_e32 v3, 0x4ec5
	s_load_dwordx4 s[4:7], s[0:1], 0x0
	s_waitcnt lgkmcnt(0)
	v_mul_lo_u16 v2, 0x4f, v1
	s_barrier
	v_mul_u32_u24_sdwa v1, v0, v3 dst_sel:DWORD dst_unused:UNUSED_PAD src0_sel:WORD_0 src1_sel:DWORD
	buffer_gl0_inv
	v_add_nc_u32_e32 v7, 0x1600, v87
	v_lshrrev_b16 v11, 10, v2
	v_add_nc_u32_e32 v20, 0x2000, v87
	v_lshrrev_b32_e32 v24, 18, v1
	v_mov_b32_e32 v26, 52
	v_mov_b32_e32 v29, 3
	v_mul_lo_u16 v3, v11, 13
	v_add_nc_u32_e32 v31, 0xc00, v87
	v_mul_lo_u16 v4, v24, 13
	v_mul_u32_u24_sdwa v11, v11, v26 dst_sel:DWORD dst_unused:UNUSED_PAD src0_sel:WORD_0 src1_sel:DWORD
	v_add_nc_u32_e32 v42, 0x1a00, v87
	v_sub_nc_u16 v3, v89, v3
                                        ; implicit-def: $vgpr63
	v_sub_nc_u16 v25, v0, v4
	v_and_b32_e32 v28, 0xff, v3
	v_mul_lo_u16 v5, v25, 24
	v_mad_u16 v30, v24, 52, v25
	v_mad_u64_u32 v[3:4], null, v28, 24, s[2:3]
	v_and_b32_e32 v5, 0xffff, v5
	v_add_lshl_u32 v93, v11, v28, 3
	v_lshlrev_b32_sdwa v92, v29, v30 dst_sel:DWORD dst_unused:UNUSED_PAD src0_sel:DWORD src1_sel:WORD_0
	v_add_co_u32 v5, s0, s2, v5
	v_add_co_ci_u32_e64 v6, null, s3, 0, s0
	s_clause 0x3
	global_load_dwordx4 v[12:15], v[3:4], off
	global_load_dwordx2 v[61:62], v[3:4], off offset:16
	global_load_dwordx4 v[16:19], v[5:6], off
	global_load_dwordx2 v[59:60], v[5:6], off offset:16
	v_add_nc_u32_e32 v3, 0xa00, v87
	v_cmp_gt_u16_e64 s0, 26, v89
	ds_read2_b64 v[3:6], v3 offset0:44 offset1:226
	ds_read2_b64 v[7:10], v7 offset0:24 offset1:206
	;; [unrolled: 1-line block ×3, first 2 shown]
	ds_read2_b64 v[24:27], v87 offset1:182
	s_waitcnt vmcnt(0) lgkmcnt(0)
	s_barrier
	buffer_gl0_inv
	v_mul_f32_e32 v11, v4, v13
	v_mul_f32_e32 v28, v3, v13
	;; [unrolled: 1-line block ×12, first 2 shown]
	v_fma_f32 v3, v3, v12, -v11
	v_fmac_f32_e32 v28, v4, v12
	v_fma_f32 v4, v7, v14, -v29
	v_fmac_f32_e32 v30, v8, v14
	;; [unrolled: 2-line block ×6, first 2 shown]
	v_sub_f32_e32 v9, v24, v4
	v_sub_f32_e32 v10, v25, v30
	;; [unrolled: 1-line block ×8, first 2 shown]
	v_fma_f32 v22, v24, 2.0, -v9
	v_fma_f32 v23, v25, 2.0, -v10
	;; [unrolled: 1-line block ×4, first 2 shown]
	v_sub_f32_e32 v3, v9, v7
	v_add_f32_e32 v4, v10, v4
	v_fma_f32 v25, v26, 2.0, -v11
	v_fma_f32 v26, v27, 2.0, -v21
	;; [unrolled: 1-line block ×4, first 2 shown]
	v_add_f32_e32 v35, v21, v6
	v_sub_f32_e32 v5, v22, v20
	v_sub_f32_e32 v6, v23, v24
	;; [unrolled: 1-line block ×3, first 2 shown]
	v_fma_f32 v7, v9, 2.0, -v3
	v_fma_f32 v8, v10, 2.0, -v4
	v_sub_f32_e32 v9, v25, v27
	v_sub_f32_e32 v10, v26, v28
	v_fma_f32 v22, v22, 2.0, -v5
	v_fma_f32 v23, v23, 2.0, -v6
	;; [unrolled: 1-line block ×6, first 2 shown]
	ds_write2_b64 v93, v[5:6], v[3:4] offset0:26 offset1:39
	ds_write2_b64 v93, v[22:23], v[7:8] offset1:13
	ds_write2_b64 v92, v[9:10], v[34:35] offset0:26 offset1:39
	ds_write2_b64 v92, v[24:25], v[20:21] offset1:13
	s_waitcnt lgkmcnt(0)
	s_barrier
	buffer_gl0_inv
	ds_read2_b64 v[38:41], v87 offset1:208
	ds_read2_b64 v[46:49], v31 offset0:32 offset1:240
	ds_read2_b64 v[42:45], v42 offset1:208
	ds_read_b64 v[56:57], v87 offset:9984
	s_and_saveexec_b32 s1, s0
	s_cbranch_execz .LBB0_9
; %bb.8:
	v_add_nc_u32_e32 v3, 0x1200, v87
	v_add_nc_u32_e32 v7, 0x1f00, v87
	;; [unrolled: 1-line block ×3, first 2 shown]
	ds_read2_b64 v[3:6], v3 offset0:22 offset1:230
	ds_read2_b64 v[30:33], v7 offset0:22 offset1:230
	;; [unrolled: 1-line block ×3, first 2 shown]
	ds_read_b64 v[63:64], v87 offset:11440
	s_waitcnt lgkmcnt(2)
	v_mov_b32_e32 v50, v30
	v_mov_b32_e32 v52, v5
	;; [unrolled: 1-line block ×6, first 2 shown]
.LBB0_9:
	s_or_b32 exec_lo, exec_lo, s1
	v_lshrrev_b16 v65, 12, v2
	v_lshrrev_b32_e32 v1, 20, v1
	v_mov_b32_e32 v67, 0x16c
	v_mul_lo_u16 v2, v65, 52
	v_mul_lo_u16 v1, v1, 52
	v_mul_u32_u24_sdwa v65, v65, v67 dst_sel:DWORD dst_unused:UNUSED_PAD src0_sel:WORD_0 src1_sel:DWORD
	v_sub_nc_u16 v2, v89, v2
	v_sub_nc_u16 v91, v0, v1
	v_and_b32_e32 v66, 0xff, v2
	v_mul_lo_u16 v2, v91, 48
	v_mad_u64_u32 v[0:1], null, v66, 48, s[2:3]
	v_and_b32_e32 v2, 0xffff, v2
	v_add_lshl_u32 v94, v65, v66, 3
	s_clause 0x1
	global_load_dwordx4 v[28:31], v[0:1], off offset:312
	global_load_dwordx4 v[20:23], v[0:1], off offset:328
	v_add_co_u32 v8, s1, s2, v2
	v_add_co_ci_u32_e64 v9, null, s3, 0, s1
	s_clause 0x3
	global_load_dwordx4 v[24:27], v[0:1], off offset:344
	global_load_dwordx4 v[4:7], v[8:9], off offset:312
	;; [unrolled: 1-line block ×4, first 2 shown]
	v_add_nc_u32_e32 v65, 0x400, v94
	s_waitcnt vmcnt(0) lgkmcnt(0)
	s_barrier
	buffer_gl0_inv
	v_mul_f32_e32 v66, v41, v29
	v_mul_f32_e32 v67, v40, v29
	;; [unrolled: 1-line block ×24, first 2 shown]
	v_fma_f32 v40, v40, v28, -v66
	v_fmac_f32_e32 v67, v41, v28
	v_fma_f32 v41, v46, v30, -v68
	v_fmac_f32_e32 v69, v47, v30
	;; [unrolled: 2-line block ×12, first 2 shown]
	v_add_f32_e32 v48, v40, v44
	v_add_f32_e32 v49, v67, v77
	v_sub_f32_e32 v40, v40, v44
	v_sub_f32_e32 v44, v67, v77
	v_add_f32_e32 v50, v41, v43
	v_add_f32_e32 v51, v69, v75
	v_sub_f32_e32 v41, v41, v43
	v_sub_f32_e32 v43, v69, v75
	;; [unrolled: 4-line block ×3, first 2 shown]
	v_add_f32_e32 v54, v36, v33
	v_add_f32_e32 v55, v79, v97
	;; [unrolled: 1-line block ×4, first 2 shown]
	v_sub_f32_e32 v33, v36, v33
	v_sub_f32_e32 v36, v79, v97
	;; [unrolled: 1-line block ×4, first 2 shown]
	v_add_f32_e32 v63, v45, v47
	v_add_f32_e32 v64, v83, v85
	v_sub_f32_e32 v45, v47, v45
	v_sub_f32_e32 v47, v85, v83
	v_add_f32_e32 v66, v50, v48
	v_add_f32_e32 v67, v51, v49
	v_sub_f32_e32 v68, v50, v48
	v_sub_f32_e32 v69, v51, v49
	;; [unrolled: 1-line block ×6, first 2 shown]
	v_add_f32_e32 v70, v42, v41
	v_add_f32_e32 v71, v46, v43
	v_sub_f32_e32 v72, v42, v41
	v_sub_f32_e32 v73, v46, v43
	;; [unrolled: 1-line block ×5, first 2 shown]
	v_add_f32_e32 v42, v56, v54
	v_add_f32_e32 v43, v57, v55
	v_sub_f32_e32 v46, v44, v46
	v_sub_f32_e32 v76, v56, v54
	;; [unrolled: 1-line block ×7, first 2 shown]
	v_add_f32_e32 v78, v45, v32
	v_add_f32_e32 v79, v47, v37
	v_sub_f32_e32 v80, v45, v32
	v_sub_f32_e32 v81, v47, v37
	;; [unrolled: 1-line block ×4, first 2 shown]
	v_add_f32_e32 v52, v52, v66
	v_add_f32_e32 v53, v53, v67
	;; [unrolled: 1-line block ×4, first 2 shown]
	v_mul_f32_e32 v40, 0x3f4a47b2, v48
	v_mul_f32_e32 v48, 0x3f4a47b2, v49
	;; [unrolled: 1-line block ×8, first 2 shown]
	v_add_f32_e32 v63, v63, v42
	v_add_f32_e32 v64, v64, v43
	v_sub_f32_e32 v45, v33, v45
	v_sub_f32_e32 v47, v36, v47
	v_add_f32_e32 v33, v78, v33
	v_add_f32_e32 v36, v79, v36
	v_mul_f32_e32 v54, 0x3f4a47b2, v54
	v_mul_f32_e32 v55, 0x3f4a47b2, v55
	;; [unrolled: 1-line block ×8, first 2 shown]
	v_add_f32_e32 v42, v38, v52
	v_add_f32_e32 v43, v39, v53
	v_fmamk_f32 v38, v50, 0x3d64c772, v40
	v_fmamk_f32 v39, v51, 0x3d64c772, v48
	v_fma_f32 v49, 0x3f3bfb3b, v68, -v49
	v_fma_f32 v50, 0x3f3bfb3b, v69, -v67
	;; [unrolled: 1-line block ×4, first 2 shown]
	v_fmamk_f32 v67, v74, 0x3eae86e6, v70
	v_fmamk_f32 v68, v46, 0x3eae86e6, v71
	v_fma_f32 v69, 0x3f5ff5aa, v41, -v70
	v_fma_f32 v70, 0x3f5ff5aa, v75, -v71
	;; [unrolled: 1-line block ×4, first 2 shown]
	v_add_f32_e32 v40, v34, v63
	v_add_f32_e32 v41, v35, v64
	v_fmamk_f32 v34, v56, 0x3d64c772, v54
	v_fmamk_f32 v35, v57, 0x3d64c772, v55
	v_fma_f32 v46, 0x3f3bfb3b, v76, -v78
	v_fma_f32 v56, 0x3f3bfb3b, v77, -v79
	;; [unrolled: 1-line block ×4, first 2 shown]
	v_fmamk_f32 v57, v45, 0x3eae86e6, v80
	v_fmamk_f32 v73, v47, 0x3eae86e6, v81
	v_fma_f32 v74, 0x3f5ff5aa, v32, -v80
	v_fma_f32 v75, 0x3f5ff5aa, v37, -v81
	;; [unrolled: 1-line block ×4, first 2 shown]
	v_fmamk_f32 v32, v52, 0xbf955555, v42
	v_fmamk_f32 v37, v53, 0xbf955555, v43
	v_fmac_f32_e32 v68, 0x3ee1c552, v44
	v_fmac_f32_e32 v70, 0x3ee1c552, v44
	;; [unrolled: 1-line block ×3, first 2 shown]
	v_fmamk_f32 v44, v63, 0xbf955555, v40
	v_fmamk_f32 v45, v64, 0xbf955555, v41
	v_fmac_f32_e32 v67, 0x3ee1c552, v66
	v_fmac_f32_e32 v69, 0x3ee1c552, v66
	;; [unrolled: 1-line block ×9, first 2 shown]
	v_add_f32_e32 v33, v38, v32
	v_add_f32_e32 v36, v39, v37
	;; [unrolled: 1-line block ×13, first 2 shown]
	v_sub_f32_e32 v45, v36, v67
	v_add_f32_e32 v46, v72, v32
	v_sub_f32_e32 v47, v37, v71
	v_sub_f32_e32 v48, v38, v70
	v_add_f32_e32 v49, v69, v39
	v_add_f32_e32 v50, v70, v38
	v_sub_f32_e32 v51, v39, v69
	v_sub_f32_e32 v52, v32, v72
	v_add_f32_e32 v53, v71, v37
	v_sub_f32_e32 v54, v33, v68
	v_add_f32_e32 v55, v67, v36
	v_add_f32_e32 v36, v73, v63
	v_sub_f32_e32 v37, v64, v57
	v_add_f32_e32 v38, v77, v56
	v_sub_f32_e32 v39, v66, v76
	v_sub_f32_e32 v32, v34, v75
	v_add_f32_e32 v33, v74, v35
	v_add_f32_e32 v34, v75, v34
	v_sub_f32_e32 v35, v35, v74
	v_sub_f32_e32 v77, v56, v77
	v_add_f32_e32 v78, v76, v66
	v_sub_f32_e32 v75, v63, v73
	v_add_f32_e32 v76, v57, v64
	ds_write2_b64 v94, v[42:43], v[44:45] offset1:52
	ds_write2_b64 v94, v[46:47], v[48:49] offset0:104 offset1:156
	ds_write2_b64 v65, v[50:51], v[52:53] offset0:80 offset1:132
	ds_write_b64 v94, v[54:55] offset:2496
	s_and_saveexec_b32 s1, s0
	s_cbranch_execz .LBB0_11
; %bb.10:
	v_mov_b32_e32 v42, 3
	v_lshlrev_b32_sdwa v42, v42, v91 dst_sel:DWORD dst_unused:UNUSED_PAD src0_sel:DWORD src1_sel:WORD_0
	v_add_nc_u32_e32 v43, 0x2000, v42
	v_add_nc_u32_e32 v44, 0x2800, v42
	ds_write2_b64 v43, v[40:41], v[36:37] offset0:68 offset1:120
	ds_write2_b64 v43, v[38:39], v[32:33] offset0:172 offset1:224
	;; [unrolled: 1-line block ×3, first 2 shown]
	ds_write_b64 v42, v[75:76] offset:11232
.LBB0_11:
	s_or_b32 exec_lo, exec_lo, s1
	v_add_co_u32 v69, s1, s2, v87
	v_add_co_ci_u32_e64 v70, null, s3, 0, s1
	s_waitcnt lgkmcnt(0)
	v_add_co_u32 v40, s1, 0x800, v69
	v_add_co_ci_u32_e64 v41, s1, 0, v70, s1
	v_add_co_u32 v56, s1, 0x1000, v69
	v_add_co_ci_u32_e64 v57, s1, 0, v70, s1
	s_barrier
	buffer_gl0_inv
	s_clause 0x1
	global_load_dwordx2 v[63:64], v[40:41], off offset:760
	global_load_dwordx2 v[65:66], v[56:57], off offset:168
	v_add_nc_u32_e32 v95, 0x1600, v87
	v_add_nc_u32_e32 v96, 0x2000, v87
	;; [unrolled: 1-line block ×3, first 2 shown]
	v_add_co_u32 v67, s1, 0x1800, v69
	ds_read2_b64 v[40:43], v95 offset0:24 offset1:206
	ds_read2_b64 v[44:47], v96 offset0:68 offset1:250
	ds_read2_b64 v[48:51], v87 offset1:182
	ds_read2_b64 v[52:55], v97 offset0:44 offset1:226
	v_add_co_ci_u32_e64 v68, s1, 0, v70, s1
	v_add_co_u32 v73, s1, 0x2000, v69
	v_add_co_ci_u32_e64 v74, s1, 0, v70, s1
	s_waitcnt vmcnt(0) lgkmcnt(0)
	s_barrier
	buffer_gl0_inv
	v_mul_f32_e32 v69, v41, v64
	v_mul_f32_e32 v70, v40, v64
	v_mul_f32_e32 v71, v43, v66
	v_mul_f32_e32 v72, v42, v66
	v_mul_f32_e32 v79, v45, v64
	v_mul_f32_e32 v80, v44, v64
	v_mul_f32_e32 v81, v47, v66
	v_mul_f32_e32 v82, v46, v66
	v_fma_f32 v40, v40, v63, -v69
	v_fmac_f32_e32 v70, v41, v63
	v_fma_f32 v42, v42, v65, -v71
	v_fmac_f32_e32 v72, v43, v65
	;; [unrolled: 2-line block ×4, first 2 shown]
	v_sub_f32_e32 v40, v48, v40
	v_sub_f32_e32 v41, v49, v70
	;; [unrolled: 1-line block ×8, first 2 shown]
	v_fma_f32 v48, v48, 2.0, -v40
	v_fma_f32 v49, v49, 2.0, -v41
	;; [unrolled: 1-line block ×8, first 2 shown]
	ds_write2_b64 v97, v[40:41], v[42:43] offset0:44 offset1:226
	ds_write2_b64 v96, v[44:45], v[46:47] offset0:68 offset1:250
	ds_write2_b64 v87, v[48:49], v[50:51] offset1:182
	ds_write2_b64 v95, v[52:53], v[54:55] offset0:24 offset1:206
	s_waitcnt lgkmcnt(0)
	s_barrier
	buffer_gl0_inv
	s_clause 0x3
	global_load_dwordx2 v[69:70], v[56:57], off offset:1624
	global_load_dwordx2 v[67:68], v[67:68], off offset:1032
	;; [unrolled: 1-line block ×4, first 2 shown]
	ds_read2_b64 v[40:43], v95 offset0:24 offset1:206
	ds_read2_b64 v[44:47], v96 offset0:68 offset1:250
	ds_read2_b64 v[79:82], v87 offset1:182
	ds_read2_b64 v[83:86], v97 offset0:44 offset1:226
	s_waitcnt vmcnt(3) lgkmcnt(3)
	v_mul_f32_e32 v48, v41, v70
	v_mul_f32_e32 v49, v40, v70
	s_waitcnt vmcnt(2)
	v_mul_f32_e32 v50, v43, v68
	v_mul_f32_e32 v51, v42, v68
	s_waitcnt vmcnt(1) lgkmcnt(2)
	v_mul_f32_e32 v52, v45, v72
	v_mul_f32_e32 v53, v44, v72
	s_waitcnt vmcnt(0)
	v_mul_f32_e32 v54, v47, v74
	v_mul_f32_e32 v56, v46, v74
	v_fma_f32 v40, v40, v69, -v48
	v_fmac_f32_e32 v49, v41, v69
	v_fma_f32 v41, v42, v67, -v50
	v_fmac_f32_e32 v51, v43, v67
	;; [unrolled: 2-line block ×4, first 2 shown]
	s_waitcnt lgkmcnt(1)
	v_sub_f32_e32 v42, v79, v40
	v_sub_f32_e32 v43, v80, v49
	;; [unrolled: 1-line block ×4, first 2 shown]
	s_waitcnt lgkmcnt(0)
	v_sub_f32_e32 v50, v83, v44
	v_sub_f32_e32 v51, v84, v53
	;; [unrolled: 1-line block ×4, first 2 shown]
	v_fma_f32 v40, v79, 2.0, -v42
	v_fma_f32 v41, v80, 2.0, -v43
	;; [unrolled: 1-line block ×8, first 2 shown]
	ds_write2_b64 v95, v[42:43], v[54:55] offset0:24 offset1:206
	ds_write2_b64 v96, v[50:51], v[46:47] offset0:68 offset1:250
	ds_write2_b64 v87, v[40:41], v[52:53] offset1:182
	ds_write2_b64 v97, v[48:49], v[44:45] offset0:44 offset1:226
	s_waitcnt lgkmcnt(0)
	s_barrier
	buffer_gl0_inv
	s_and_saveexec_b32 s8, vcc_lo
	s_cbranch_execz .LBB0_13
; %bb.12:
	s_add_u32 s2, s14, 0x2d80
	s_addc_u32 s3, s15, 0
	v_add_co_u32 v95, s1, s2, v87
	global_load_dwordx2 v[56:57], v87, s[2:3]
	v_add_co_ci_u32_e64 v96, null, s3, 0, s1
	v_add_co_u32 v79, s1, 0x800, v95
	s_clause 0x1
	global_load_dwordx2 v[111:112], v87, s[2:3] offset:896
	global_load_dwordx2 v[113:114], v87, s[2:3] offset:1792
	v_add_co_ci_u32_e64 v80, s1, 0, v96, s1
	v_add_co_u32 v81, s1, 0x1000, v95
	v_add_co_ci_u32_e64 v82, s1, 0, v96, s1
	v_add_co_u32 v83, s1, 0x1800, v95
	;; [unrolled: 2-line block ×3, first 2 shown]
	v_add_co_ci_u32_e64 v86, s1, 0, v96, s1
	s_clause 0x1
	global_load_dwordx2 v[115:116], v[79:80], off offset:640
	global_load_dwordx2 v[117:118], v[79:80], off offset:1536
	v_or_b32_e32 v79, 0x1c00, v87
	s_clause 0x5
	global_load_dwordx2 v[119:120], v[81:82], off offset:384
	global_load_dwordx2 v[121:122], v[81:82], off offset:1280
	;; [unrolled: 1-line block ×4, first 2 shown]
	global_load_dwordx2 v[127:128], v79, s[2:3]
	global_load_dwordx2 v[129:130], v[83:84], off offset:1920
	v_add_co_u32 v79, s1, 0x2800, v95
	v_add_co_ci_u32_e64 v80, s1, 0, v96, s1
	s_clause 0x1
	global_load_dwordx2 v[131:132], v[85:86], off offset:1664
	global_load_dwordx2 v[133:134], v[79:80], off offset:512
	ds_read_b64 v[79:80], v87
	v_add_nc_u32_e32 v135, 0x800, v87
	v_add_nc_u32_e32 v136, 0x1000, v87
	;; [unrolled: 1-line block ×5, first 2 shown]
	s_waitcnt vmcnt(12) lgkmcnt(0)
	v_mul_f32_e32 v81, v80, v57
	v_mul_f32_e32 v82, v79, v57
	v_fma_f32 v81, v79, v56, -v81
	v_fmac_f32_e32 v82, v80, v56
	ds_write_b64 v87, v[81:82]
	ds_read2_b64 v[79:82], v87 offset0:112 offset1:224
	ds_read2_b64 v[83:86], v135 offset0:80 offset1:192
	;; [unrolled: 1-line block ×6, first 2 shown]
	s_waitcnt vmcnt(11) lgkmcnt(5)
	v_mul_f32_e32 v56, v80, v112
	v_mul_f32_e32 v57, v79, v112
	s_waitcnt vmcnt(10)
	v_mul_f32_e32 v140, v82, v114
	v_mul_f32_e32 v112, v81, v114
	s_waitcnt vmcnt(9) lgkmcnt(4)
	v_mul_f32_e32 v141, v84, v116
	v_mul_f32_e32 v114, v83, v116
	s_waitcnt vmcnt(8)
	v_mul_f32_e32 v142, v86, v118
	v_mul_f32_e32 v116, v85, v118
	;; [unrolled: 6-line block ×4, first 2 shown]
	s_waitcnt vmcnt(2) lgkmcnt(1)
	v_mul_f32_e32 v147, v104, v130
	v_mul_f32_e32 v128, v103, v130
	v_mul_f32_e32 v148, v106, v126
	v_mul_f32_e32 v130, v105, v126
	s_waitcnt vmcnt(1) lgkmcnt(0)
	v_mul_f32_e32 v149, v108, v132
	v_mul_f32_e32 v126, v107, v132
	s_waitcnt vmcnt(0)
	v_mul_f32_e32 v150, v110, v134
	v_mul_f32_e32 v132, v109, v134
	v_fma_f32 v56, v79, v111, -v56
	v_fmac_f32_e32 v57, v80, v111
	v_fma_f32 v111, v81, v113, -v140
	v_fmac_f32_e32 v112, v82, v113
	;; [unrolled: 2-line block ×12, first 2 shown]
	ds_write2_b64 v87, v[56:57], v[111:112] offset0:112 offset1:224
	ds_write2_b64 v135, v[113:114], v[115:116] offset0:80 offset1:192
	;; [unrolled: 1-line block ×6, first 2 shown]
.LBB0_13:
	s_or_b32 exec_lo, exec_lo, s8
	s_waitcnt lgkmcnt(0)
	s_barrier
	buffer_gl0_inv
	s_and_saveexec_b32 s1, vcc_lo
	s_cbranch_execz .LBB0_15
; %bb.14:
	v_add_nc_u32_e32 v32, 0x400, v87
	v_add_nc_u32_e32 v33, 0xc00, v87
	;; [unrolled: 1-line block ×5, first 2 shown]
	ds_read2_b64 v[40:43], v87 offset1:112
	ds_read2_b64 v[52:55], v32 offset0:96 offset1:208
	ds_read2_b64 v[48:51], v33 offset0:64 offset1:176
	;; [unrolled: 1-line block ×5, first 2 shown]
	ds_read_b64 v[77:78], v87 offset:10752
.LBB0_15:
	s_or_b32 exec_lo, exec_lo, s1
	s_waitcnt lgkmcnt(0)
	v_sub_f32_e32 v141, v43, v78
	v_add_f32_e32 v132, v78, v43
	v_add_f32_e32 v120, v77, v42
	v_sub_f32_e32 v148, v53, v35
	v_sub_f32_e32 v147, v42, v77
	v_mul_f32_e32 v99, 0xbf52af12, v141
	v_mul_f32_e32 v107, 0x3df6dbef, v132
	v_add_f32_e32 v143, v35, v53
	v_add_f32_e32 v129, v34, v52
	v_mul_f32_e32 v104, 0xbf6f5d39, v148
	v_fma_f32 v79, 0x3f116cb1, v120, -v99
	v_mul_f32_e32 v95, 0xbeedf032, v141
	v_fmamk_f32 v82, v147, 0xbf7e222b, v107
	v_mul_f32_e32 v121, 0xbf29c268, v141
	v_sub_f32_e32 v157, v52, v34
	v_add_f32_e32 v79, v40, v79
	v_fma_f32 v105, 0xbeb58ec6, v129, -v104
	v_mul_f32_e32 v116, 0xbf788fa5, v143
	v_mul_f32_e32 v96, 0x3f62ad3f, v132
	;; [unrolled: 1-line block ×3, first 2 shown]
	v_fma_f32 v56, 0x3f62ad3f, v120, -v95
	v_add_f32_e32 v82, v41, v82
	v_mul_f32_e32 v130, 0xbf3f9e67, v132
	v_mul_f32_e32 v97, 0xbf52af12, v148
	v_fma_f32 v85, 0xbf3f9e67, v120, -v121
	v_add_f32_e32 v79, v105, v79
	v_fmamk_f32 v105, v157, 0xbe750f2a, v116
	v_mul_f32_e32 v133, 0x3f7e222b, v148
	v_fmamk_f32 v57, v147, 0xbeedf032, v96
	v_mul_f32_e32 v103, 0xbf7e222b, v141
	v_add_f32_e32 v56, v40, v56
	v_fmamk_f32 v80, v147, 0xbf52af12, v102
	v_mul_f32_e32 v98, 0x3f116cb1, v143
	v_fmamk_f32 v86, v147, 0xbf29c268, v130
	v_fma_f32 v100, 0x3f116cb1, v129, -v97
	v_add_f32_e32 v85, v40, v85
	v_mul_f32_e32 v108, 0xbeb58ec6, v143
	v_add_f32_e32 v82, v105, v82
	v_mul_f32_e32 v139, 0x3df6dbef, v143
	v_add_f32_e32 v153, v33, v55
	v_fma_f32 v105, 0x3df6dbef, v129, -v133
	v_add_f32_e32 v57, v41, v57
	v_mul_f32_e32 v114, 0xbeb58ec6, v132
	v_fma_f32 v81, 0x3df6dbef, v120, -v103
	v_add_f32_e32 v80, v41, v80
	v_fmamk_f32 v101, v157, 0xbf52af12, v98
	v_add_f32_e32 v86, v41, v86
	v_add_f32_e32 v56, v100, v56
	v_mul_f32_e32 v110, 0xbe750f2a, v148
	v_fmamk_f32 v100, v157, 0xbf6f5d39, v108
	v_sub_f32_e32 v160, v55, v33
	v_sub_f32_e32 v167, v54, v32
	v_add_f32_e32 v85, v105, v85
	v_fmamk_f32 v105, v157, 0x3f7e222b, v139
	v_mul_f32_e32 v112, 0xbf788fa5, v153
	v_mul_f32_e32 v109, 0xbf6f5d39, v141
	v_fmamk_f32 v84, v147, 0xbf6f5d39, v114
	v_add_f32_e32 v81, v40, v81
	v_add_f32_e32 v57, v101, v57
	v_mul_f32_e32 v125, 0xbf3f9e67, v143
	v_fma_f32 v101, 0xbf788fa5, v129, -v110
	v_add_f32_e32 v80, v100, v80
	v_add_f32_e32 v138, v32, v54
	;; [unrolled: 1-line block ×3, first 2 shown]
	v_fmamk_f32 v105, v167, 0xbe750f2a, v112
	v_mul_f32_e32 v117, 0x3f6f5d39, v160
	v_fma_f32 v83, 0xbeb58ec6, v120, -v109
	v_add_f32_e32 v84, v41, v84
	v_mul_f32_e32 v118, 0x3f29c268, v148
	v_fmamk_f32 v100, v157, 0x3f29c268, v125
	v_add_f32_e32 v81, v101, v81
	v_mul_f32_e32 v101, 0x3df6dbef, v153
	v_mul_f32_e32 v111, 0xbe750f2a, v160
	v_add_f32_e32 v80, v105, v80
	v_fma_f32 v105, 0xbeb58ec6, v138, -v117
	v_mul_f32_e32 v146, 0xbf52af12, v160
	v_add_f32_e32 v83, v40, v83
	v_fma_f32 v106, 0xbf3f9e67, v129, -v118
	v_add_f32_e32 v84, v100, v84
	v_mul_f32_e32 v100, 0xbf7e222b, v160
	v_fmamk_f32 v113, v167, 0xbf7e222b, v101
	v_fma_f32 v115, 0xbf788fa5, v138, -v111
	v_mul_f32_e32 v131, 0x3eedf032, v160
	v_mul_f32_e32 v134, 0x3f62ad3f, v153
	v_add_f32_e32 v81, v105, v81
	v_fma_f32 v105, 0x3f116cb1, v138, -v146
	v_sub_f32_e32 v165, v49, v39
	v_add_f32_e32 v83, v106, v83
	v_fma_f32 v106, 0x3df6dbef, v138, -v100
	v_add_f32_e32 v57, v113, v57
	v_add_f32_e32 v79, v115, v79
	v_fma_f32 v113, 0x3f62ad3f, v138, -v131
	v_fmamk_f32 v115, v167, 0x3eedf032, v134
	v_mul_f32_e32 v150, 0x3f116cb1, v153
	v_add_f32_e32 v162, v39, v49
	v_add_f32_e32 v85, v105, v85
	;; [unrolled: 1-line block ×3, first 2 shown]
	v_mul_f32_e32 v105, 0xbf6f5d39, v165
	v_add_f32_e32 v56, v106, v56
	v_mul_f32_e32 v127, 0xbeb58ec6, v153
	v_add_f32_e32 v83, v113, v83
	v_add_f32_e32 v84, v115, v84
	v_sub_f32_e32 v172, v48, v38
	v_fmamk_f32 v113, v167, 0xbf52af12, v150
	v_mul_f32_e32 v119, 0x3f29c268, v165
	v_fma_f32 v115, 0xbeb58ec6, v149, -v105
	v_mul_f32_e32 v123, 0xbf3f9e67, v162
	v_fmamk_f32 v106, v167, 0x3f6f5d39, v127
	v_add_f32_e32 v86, v113, v86
	v_fma_f32 v113, 0xbf3f9e67, v149, -v119
	v_add_f32_e32 v56, v115, v56
	v_fmamk_f32 v115, v172, 0x3f29c268, v123
	v_mul_f32_e32 v128, 0x3eedf032, v165
	v_mul_f32_e32 v140, 0x3f62ad3f, v162
	v_add_f32_e32 v82, v106, v82
	v_mul_f32_e32 v106, 0xbeb58ec6, v162
	v_add_f32_e32 v79, v113, v79
	v_add_f32_e32 v80, v115, v80
	v_fma_f32 v113, 0x3f62ad3f, v149, -v128
	v_mul_f32_e32 v145, 0x3df6dbef, v162
	v_fmamk_f32 v115, v172, 0x3eedf032, v140
	v_mul_f32_e32 v155, 0x3e750f2a, v165
	v_fmamk_f32 v122, v172, 0xbf6f5d39, v106
	v_mul_f32_e32 v144, 0xbf7e222b, v165
	v_add_f32_e32 v81, v113, v81
	v_fmamk_f32 v113, v172, 0xbf7e222b, v145
	v_add_f32_e32 v82, v115, v82
	v_fma_f32 v115, 0xbf788fa5, v149, -v155
	v_sub_f32_e32 v173, v51, v37
	v_add_f32_e32 v170, v37, v51
	v_add_f32_e32 v57, v122, v57
	v_fma_f32 v122, 0x3df6dbef, v149, -v144
	v_mul_f32_e32 v158, 0xbf788fa5, v162
	v_add_f32_e32 v84, v113, v84
	v_add_f32_e32 v85, v115, v85
	;; [unrolled: 1-line block ×3, first 2 shown]
	v_mul_f32_e32 v113, 0xbf29c268, v173
	v_sub_f32_e32 v174, v50, v36
	v_mul_f32_e32 v115, 0xbf3f9e67, v170
	v_add_f32_e32 v83, v122, v83
	v_fmamk_f32 v122, v172, 0x3e750f2a, v158
	v_fma_f32 v124, 0xbf3f9e67, v161, -v113
	v_mul_f32_e32 v136, 0x3df6dbef, v170
	v_fmamk_f32 v126, v174, 0xbf29c268, v115
	v_mul_f32_e32 v142, 0xbf52af12, v173
	v_add_f32_e32 v86, v122, v86
	v_mul_f32_e32 v122, 0x3f7e222b, v173
	v_add_f32_e32 v56, v124, v56
	v_fmamk_f32 v124, v174, 0x3f7e222b, v136
	v_add_f32_e32 v57, v126, v57
	v_fma_f32 v126, 0x3f116cb1, v161, -v142
	v_mul_f32_e32 v151, 0x3f116cb1, v170
	v_mul_f32_e32 v154, 0x3e750f2a, v173
	;; [unrolled: 1-line block ×3, first 2 shown]
	v_fma_f32 v135, 0x3df6dbef, v161, -v122
	v_add_f32_e32 v80, v124, v80
	v_add_f32_e32 v163, v126, v81
	v_fmamk_f32 v81, v174, 0xbf52af12, v151
	v_mul_f32_e32 v164, 0x3eedf032, v173
	v_fma_f32 v124, 0xbf788fa5, v161, -v154
	v_mul_f32_e32 v168, 0x3f62ad3f, v170
	v_fmamk_f32 v126, v174, 0x3e750f2a, v156
	v_sub_f32_e32 v177, v45, v47
	v_add_f32_e32 v176, v47, v45
	v_add_f32_e32 v79, v135, v79
	;; [unrolled: 1-line block ×3, first 2 shown]
	v_fma_f32 v81, 0x3f62ad3f, v161, -v164
	v_add_f32_e32 v83, v124, v83
	v_fmamk_f32 v82, v174, 0x3eedf032, v168
	v_add_f32_e32 v84, v126, v84
	v_add_f32_e32 v169, v46, v44
	v_mul_f32_e32 v124, 0xbe750f2a, v177
	v_sub_f32_e32 v178, v44, v46
	v_mul_f32_e32 v126, 0xbf788fa5, v176
	v_mul_f32_e32 v135, 0x3eedf032, v177
	;; [unrolled: 1-line block ×4, first 2 shown]
	v_add_f32_e32 v85, v81, v85
	v_add_f32_e32 v86, v82, v86
	v_fma_f32 v81, 0xbf788fa5, v169, -v124
	v_fmamk_f32 v82, v178, 0xbe750f2a, v126
	v_fma_f32 v159, 0x3f62ad3f, v169, -v135
	v_fmamk_f32 v166, v178, 0x3eedf032, v137
	v_fma_f32 v171, 0xbf3f9e67, v169, -v152
	v_add_f32_e32 v56, v81, v56
	v_add_f32_e32 v57, v82, v57
	;; [unrolled: 1-line block ×4, first 2 shown]
	v_mul_f32_e32 v159, 0xbf3f9e67, v176
	v_add_f32_e32 v79, v171, v163
	v_mul_f32_e32 v163, 0x3f52af12, v177
	v_mul_f32_e32 v166, 0x3f116cb1, v176
	;; [unrolled: 1-line block ×4, first 2 shown]
	v_fmamk_f32 v80, v178, 0xbf29c268, v159
	v_fma_f32 v180, 0x3f116cb1, v169, -v163
	v_fmamk_f32 v181, v178, 0x3f52af12, v166
	v_fma_f32 v182, 0xbeb58ec6, v169, -v171
	v_fmamk_f32 v183, v178, 0xbf6f5d39, v175
	v_add_f32_e32 v80, v80, v179
	v_add_f32_e32 v83, v180, v83
	;; [unrolled: 1-line block ×5, first 2 shown]
	s_barrier
	buffer_gl0_inv
	s_and_saveexec_b32 s1, vcc_lo
	s_cbranch_execz .LBB0_17
; %bb.16:
	v_mul_f32_e32 v180, 0xbeedf032, v147
	v_mul_f32_e32 v182, 0xbf52af12, v147
	;; [unrolled: 1-line block ×11, first 2 shown]
	v_fmamk_f32 v227, v132, 0xbf788fa5, v147
	v_mul_f32_e32 v157, 0x3eedf032, v157
	v_fma_f32 v132, 0xbf788fa5, v132, -v147
	v_mul_f32_e32 v200, 0xbf7e222b, v167
	v_mul_f32_e32 v202, 0xbe750f2a, v167
	;; [unrolled: 1-line block ×5, first 2 shown]
	v_add_f32_e32 v227, v41, v227
	v_fmamk_f32 v231, v143, 0x3f62ad3f, v157
	v_mul_f32_e32 v167, 0xbf29c268, v167
	v_add_f32_e32 v132, v41, v132
	v_fma_f32 v143, 0x3f62ad3f, v143, -v157
	v_mul_f32_e32 v210, 0xbf6f5d39, v172
	v_mul_f32_e32 v212, 0x3f29c268, v172
	;; [unrolled: 1-line block ×5, first 2 shown]
	v_add_f32_e32 v227, v231, v227
	v_fmamk_f32 v231, v153, 0xbf3f9e67, v167
	v_mul_f32_e32 v172, 0x3f52af12, v172
	v_add_f32_e32 v132, v143, v132
	v_fma_f32 v153, 0xbf3f9e67, v153, -v167
	v_mul_f32_e32 v220, 0xbf29c268, v174
	v_mul_f32_e32 v222, 0x3f7e222b, v174
	;; [unrolled: 1-line block ×7, first 2 shown]
	v_add_f32_e32 v148, v231, v227
	v_fmamk_f32 v227, v162, 0x3f116cb1, v172
	v_mul_f32_e32 v174, 0xbf6f5d39, v174
	v_add_f32_e32 v132, v153, v132
	v_fma_f32 v162, 0x3f116cb1, v162, -v172
	v_mul_f32_e32 v179, 0x3f62ad3f, v120
	v_mul_f32_e32 v181, 0x3f116cb1, v120
	;; [unrolled: 1-line block ×5, first 2 shown]
	v_fma_f32 v234, 0xbf788fa5, v120, -v141
	v_mul_f32_e32 v153, 0x3f7e222b, v178
	v_add_f32_e32 v132, v162, v132
	v_fma_f32 v162, 0xbeb58ec6, v170, -v174
	v_fmac_f32_e32 v141, 0xbf788fa5, v120
	v_sub_f32_e32 v120, v130, v188
	v_mul_f32_e32 v189, 0x3f116cb1, v129
	v_mul_f32_e32 v191, 0xbeb58ec6, v129
	;; [unrolled: 1-line block ×5, first 2 shown]
	v_add_f32_e32 v231, v40, v234
	v_fma_f32 v234, 0x3f62ad3f, v129, -v235
	v_mul_f32_e32 v160, 0xbf29c268, v160
	v_add_f32_e32 v130, v162, v132
	v_fma_f32 v132, 0x3df6dbef, v176, -v153
	v_add_f32_e32 v141, v40, v141
	v_fmac_f32_e32 v235, 0x3f62ad3f, v129
	v_add_f32_e32 v129, v41, v120
	v_sub_f32_e32 v139, v139, v198
	v_add_f32_e32 v121, v187, v121
	v_mul_f32_e32 v207, 0x3f116cb1, v138
	v_add_f32_e32 v147, v227, v148
	v_add_f32_e32 v148, v234, v231
	v_fma_f32 v231, 0xbf3f9e67, v138, -v160
	v_mul_f32_e32 v157, 0x3f52af12, v165
	v_add_f32_e32 v120, v132, v130
	v_add_f32_e32 v130, v235, v141
	v_fmac_f32_e32 v160, 0xbf3f9e67, v138
	v_add_f32_e32 v129, v139, v129
	v_sub_f32_e32 v132, v150, v208
	v_add_f32_e32 v121, v40, v121
	v_add_f32_e32 v133, v197, v133
	;; [unrolled: 1-line block ×4, first 2 shown]
	v_mul_f32_e32 v217, 0xbf788fa5, v149
	v_fma_f32 v143, 0x3f116cb1, v149, -v157
	v_mul_f32_e32 v173, 0xbf6f5d39, v173
	v_add_f32_e32 v130, v160, v130
	v_fmac_f32_e32 v157, 0x3f116cb1, v149
	v_add_f32_e32 v129, v132, v129
	v_sub_f32_e32 v132, v158, v218
	v_add_f32_e32 v121, v133, v121
	v_add_f32_e32 v133, v207, v146
	v_sub_f32_e32 v114, v114, v186
	v_add_f32_e32 v43, v53, v43
	v_add_f32_e32 v52, v52, v42
	v_mul_f32_e32 v228, 0x3f62ad3f, v161
	v_mul_f32_e32 v232, 0xbe750f2a, v178
	;; [unrolled: 1-line block ×4, first 2 shown]
	v_add_f32_e32 v148, v231, v148
	v_mul_f32_e32 v231, 0x3f52af12, v178
	v_fma_f32 v172, 0xbeb58ec6, v161, -v173
	v_mul_f32_e32 v178, 0xbf6f5d39, v178
	v_add_f32_e32 v130, v157, v130
	v_fmac_f32_e32 v173, 0xbeb58ec6, v161
	v_add_f32_e32 v129, v132, v129
	v_sub_f32_e32 v132, v168, v229
	v_add_f32_e32 v121, v133, v121
	v_add_f32_e32 v133, v217, v155
	;; [unrolled: 1-line block ×3, first 2 shown]
	v_sub_f32_e32 v125, v125, v196
	v_sub_f32_e32 v107, v107, v184
	v_add_f32_e32 v43, v55, v43
	v_add_f32_e32 v52, v54, v52
	v_mul_f32_e32 v199, 0x3df6dbef, v138
	v_mul_f32_e32 v201, 0xbf788fa5, v138
	;; [unrolled: 1-line block ×5, first 2 shown]
	v_add_f32_e32 v138, v173, v130
	v_add_f32_e32 v129, v132, v129
	v_sub_f32_e32 v130, v175, v178
	v_add_f32_e32 v121, v133, v121
	v_add_f32_e32 v132, v228, v164
	;; [unrolled: 1-line block ×3, first 2 shown]
	v_sub_f32_e32 v125, v134, v206
	v_add_f32_e32 v107, v41, v107
	v_sub_f32_e32 v116, v116, v194
	v_add_f32_e32 v43, v49, v43
	v_add_f32_e32 v48, v48, v52
	;; [unrolled: 1-line block ×6, first 2 shown]
	v_sub_f32_e32 v125, v145, v216
	v_add_f32_e32 v107, v116, v107
	v_sub_f32_e32 v116, v127, v204
	v_add_f32_e32 v43, v51, v43
	v_add_f32_e32 v48, v50, v48
	v_add_f32_e32 v114, v125, v114
	v_sub_f32_e32 v125, v156, v226
	v_add_f32_e32 v107, v116, v107
	v_sub_f32_e32 v116, v140, v214
	v_add_f32_e32 v129, v129, v121
	v_add_f32_e32 v121, v183, v103
	v_add_f32_e32 v109, v185, v109
	;; [unrolled: 6-line block ×3, first 2 shown]
	v_add_f32_e32 v114, v125, v114
	v_sub_f32_e32 v125, v166, v231
	v_add_f32_e32 v107, v116, v107
	v_add_f32_e32 v116, v40, v121
	;; [unrolled: 1-line block ×7, first 2 shown]
	v_sub_f32_e32 v52, v98, v190
	v_add_f32_e32 v40, v40, v49
	v_add_f32_e32 v49, v189, v97
	;; [unrolled: 1-line block ×5, first 2 shown]
	v_sub_f32_e32 v114, v151, v224
	v_add_f32_e32 v110, v110, v116
	v_add_f32_e32 v116, v203, v117
	v_sub_f32_e32 v117, v108, v192
	v_add_f32_e32 v104, v191, v104
	v_add_f32_e32 v118, v195, v118
	v_mul_f32_e32 v209, 0xbeb58ec6, v149
	v_add_f32_e32 v41, v52, v41
	v_sub_f32_e32 v45, v101, v200
	v_add_f32_e32 v40, v49, v40
	v_add_f32_e32 v48, v199, v100
	;; [unrolled: 1-line block ×4, first 2 shown]
	v_mul_f32_e32 v211, 0xbf3f9e67, v149
	v_mul_f32_e32 v213, 0x3f62ad3f, v149
	v_add_f32_e32 v107, v114, v107
	v_sub_f32_e32 v114, v159, v227
	v_add_f32_e32 v102, v117, v102
	v_sub_f32_e32 v112, v112, v202
	v_add_f32_e32 v99, v104, v99
	v_add_f32_e32 v104, v201, v111
	v_mul_f32_e32 v215, 0x3df6dbef, v149
	v_add_f32_e32 v109, v118, v109
	v_add_f32_e32 v118, v205, v131
	v_mul_f32_e32 v219, 0xbf3f9e67, v161
	v_add_f32_e32 v41, v45, v41
	v_sub_f32_e32 v45, v106, v210
	v_add_f32_e32 v40, v48, v40
	v_add_f32_e32 v43, v209, v105
	;; [unrolled: 1-line block ×4, first 2 shown]
	v_mul_f32_e32 v221, 0x3df6dbef, v161
	v_mul_f32_e32 v223, 0x3f116cb1, v161
	v_add_f32_e32 v108, v114, v107
	v_add_f32_e32 v107, v116, v110
	;; [unrolled: 1-line block ×4, first 2 shown]
	v_sub_f32_e32 v112, v123, v212
	v_add_f32_e32 v99, v104, v99
	v_add_f32_e32 v104, v211, v119
	v_mul_f32_e32 v225, 0xbf788fa5, v161
	v_add_f32_e32 v109, v118, v109
	v_add_f32_e32 v118, v215, v144
	v_mul_f32_e32 v230, 0xbf788fa5, v169
	v_add_f32_e32 v41, v45, v41
	v_sub_f32_e32 v44, v115, v220
	v_add_f32_e32 v38, v43, v40
	v_add_f32_e32 v39, v219, v113
	;; [unrolled: 1-line block ×4, first 2 shown]
	v_mul_f32_e32 v233, 0x3f62ad3f, v169
	v_mul_f32_e32 v237, 0xbf3f9e67, v169
	v_add_f32_e32 v107, v110, v107
	v_add_f32_e32 v110, v223, v142
	;; [unrolled: 1-line block ×3, first 2 shown]
	v_sub_f32_e32 v111, v136, v222
	v_add_f32_e32 v99, v104, v99
	v_add_f32_e32 v53, v221, v122
	v_mul_f32_e32 v165, 0x3f116cb1, v169
	v_add_f32_e32 v109, v118, v109
	v_add_f32_e32 v118, v225, v154
	;; [unrolled: 1-line block ×3, first 2 shown]
	v_fmamk_f32 v148, v170, 0xbeb58ec6, v174
	v_mul_f32_e32 v177, 0x3f7e222b, v177
	v_add_f32_e32 v40, v44, v41
	v_sub_f32_e32 v36, v126, v232
	v_add_f32_e32 v37, v39, v38
	v_add_f32_e32 v38, v230, v124
	;; [unrolled: 1-line block ×4, first 2 shown]
	v_mov_b32_e32 v39, 3
	v_add_f32_e32 v107, v110, v107
	v_add_f32_e32 v110, v237, v152
	;; [unrolled: 1-line block ×3, first 2 shown]
	v_sub_f32_e32 v111, v137, v236
	v_add_f32_e32 v53, v53, v99
	v_add_f32_e32 v55, v233, v135
	;; [unrolled: 1-line block ×5, first 2 shown]
	v_fmamk_f32 v148, v176, 0x3df6dbef, v153
	v_add_f32_e32 v143, v172, v143
	v_fma_f32 v172, 0x3df6dbef, v169, -v177
	v_fmac_f32_e32 v177, 0x3df6dbef, v169
	v_add_f32_e32 v33, v36, v40
	v_add_f32_e32 v32, v38, v37
	;; [unrolled: 1-line block ×4, first 2 shown]
	v_lshlrev_b32_sdwa v36, v39, v90 dst_sel:DWORD dst_unused:UNUSED_PAD src0_sel:DWORD src1_sel:WORD_0
	v_add_f32_e32 v107, v110, v107
	v_add_f32_e32 v42, v111, v102
	;; [unrolled: 1-line block ×7, first 2 shown]
	ds_write2_b64 v36, v[34:35], v[32:33] offset1:1
	ds_write2_b64 v36, v[41:42], v[107:108] offset0:2 offset1:3
	ds_write2_b64 v36, v[102:103], v[129:130] offset0:4 offset1:5
	ds_write2_b64 v36, v[119:120], v[147:148] offset0:6 offset1:7
	ds_write2_b64 v36, v[85:86], v[83:84] offset0:8 offset1:9
	ds_write2_b64 v36, v[79:80], v[81:82] offset0:10 offset1:11
	ds_write_b64 v36, v[56:57] offset:96
.LBB0_17:
	s_or_b32 exec_lo, exec_lo, s1
	v_add_nc_u32_e32 v32, 0xa00, v87
	v_add_nc_u32_e32 v36, 0x1600, v87
	;; [unrolled: 1-line block ×3, first 2 shown]
	s_waitcnt lgkmcnt(0)
	s_barrier
	buffer_gl0_inv
	ds_read2_b64 v[32:35], v32 offset0:44 offset1:226
	ds_read2_b64 v[36:39], v36 offset0:24 offset1:206
	;; [unrolled: 1-line block ×3, first 2 shown]
	ds_read2_b64 v[44:47], v87 offset1:182
	s_waitcnt lgkmcnt(0)
	s_barrier
	buffer_gl0_inv
	v_mul_f32_e32 v48, v13, v33
	v_mul_f32_e32 v13, v13, v32
	;; [unrolled: 1-line block ×12, first 2 shown]
	v_fmac_f32_e32 v48, v12, v32
	v_fma_f32 v12, v12, v33, -v13
	v_fmac_f32_e32 v49, v14, v36
	v_fma_f32 v13, v14, v37, -v15
	v_fma_f32 v14, v61, v41, -v51
	v_fmac_f32_e32 v50, v61, v40
	v_fmac_f32_e32 v52, v16, v34
	v_fma_f32 v17, v16, v35, -v17
	v_fmac_f32_e32 v53, v18, v38
	v_fma_f32 v15, v18, v39, -v19
	v_fmac_f32_e32 v54, v59, v42
	v_fma_f32 v16, v59, v43, -v55
	v_sub_f32_e32 v36, v45, v13
	v_sub_f32_e32 v13, v12, v14
	;; [unrolled: 1-line block ×7, first 2 shown]
	v_fma_f32 v19, v45, 2.0, -v36
	v_fma_f32 v12, v12, 2.0, -v13
	v_sub_f32_e32 v40, v17, v16
	v_fma_f32 v18, v44, 2.0, -v32
	v_fma_f32 v14, v48, 2.0, -v33
	v_add_f32_e32 v16, v32, v13
	v_fma_f32 v41, v46, 2.0, -v38
	v_sub_f32_e32 v15, v19, v12
	v_fma_f32 v42, v47, 2.0, -v39
	v_fma_f32 v12, v52, 2.0, -v37
	;; [unrolled: 1-line block ×3, first 2 shown]
	v_sub_f32_e32 v14, v18, v14
	v_sub_f32_e32 v17, v36, v33
	v_fma_f32 v19, v19, 2.0, -v15
	v_sub_f32_e32 v34, v41, v12
	v_sub_f32_e32 v35, v42, v13
	v_add_f32_e32 v12, v38, v40
	v_sub_f32_e32 v13, v39, v37
	v_fma_f32 v18, v18, 2.0, -v14
	v_fma_f32 v32, v32, 2.0, -v16
	;; [unrolled: 1-line block ×7, first 2 shown]
	ds_write2_b64 v93, v[18:19], v[32:33] offset1:13
	ds_write2_b64 v93, v[14:15], v[16:17] offset0:26 offset1:39
	ds_write2_b64 v92, v[36:37], v[38:39] offset1:13
	ds_write2_b64 v92, v[34:35], v[12:13] offset0:26 offset1:39
	v_add_nc_u32_e32 v14, 0xc00, v87
	v_add_nc_u32_e32 v15, 0x1a00, v87
	s_waitcnt lgkmcnt(0)
	s_barrier
	buffer_gl0_inv
	ds_read2_b64 v[16:19], v87 offset1:208
	ds_read2_b64 v[36:39], v14 offset0:32 offset1:240
	ds_read2_b64 v[32:35], v15 offset1:208
	ds_read_b64 v[40:41], v87 offset:9984
	s_and_saveexec_b32 s1, s0
	s_cbranch_execz .LBB0_19
; %bb.18:
	v_add_nc_u32_e32 v12, 0x1200, v87
	v_add_nc_u32_e32 v13, 0x1f00, v87
	ds_read2_b64 v[42:45], v12 offset0:22 offset1:230
	v_add_nc_u32_e32 v12, 0x500, v87
	ds_read2_b64 v[54:57], v13 offset0:22 offset1:230
	ds_read2_b64 v[12:15], v12 offset0:22 offset1:230
	ds_read_b64 v[75:76], v87 offset:11440
	s_waitcnt lgkmcnt(3)
	v_mov_b32_e32 v79, v44
	v_mov_b32_e32 v80, v45
	;; [unrolled: 1-line block ×3, first 2 shown]
	s_waitcnt lgkmcnt(2)
	v_mov_b32_e32 v81, v54
	v_mov_b32_e32 v82, v55
	;; [unrolled: 1-line block ×3, first 2 shown]
	s_waitcnt lgkmcnt(1)
	v_mov_b32_e32 v85, v14
	v_mov_b32_e32 v86, v15
.LBB0_19:
	s_or_b32 exec_lo, exec_lo, s1
	s_waitcnt lgkmcnt(3)
	v_mul_f32_e32 v14, v29, v19
	v_mul_f32_e32 v15, v29, v18
	s_waitcnt lgkmcnt(2)
	v_mul_f32_e32 v29, v31, v37
	v_mul_f32_e32 v31, v31, v36
	s_waitcnt lgkmcnt(0)
	v_fmac_f32_e32 v14, v28, v18
	v_fma_f32 v15, v28, v19, -v15
	v_mul_f32_e32 v18, v21, v39
	v_mul_f32_e32 v19, v21, v38
	;; [unrolled: 1-line block ×3, first 2 shown]
	v_fmac_f32_e32 v29, v30, v36
	v_fma_f32 v28, v30, v37, -v31
	v_fmac_f32_e32 v18, v20, v38
	v_fma_f32 v19, v20, v39, -v19
	v_mul_f32_e32 v20, v27, v41
	v_mul_f32_e32 v27, v27, v40
	;; [unrolled: 1-line block ×5, first 2 shown]
	v_fmac_f32_e32 v21, v22, v32
	v_fmac_f32_e32 v20, v26, v40
	v_fma_f32 v26, v26, v41, -v27
	v_fma_f32 v22, v22, v33, -v23
	v_fmac_f32_e32 v30, v24, v34
	v_fma_f32 v23, v24, v35, -v25
	v_add_f32_e32 v24, v14, v20
	v_add_f32_e32 v25, v15, v26
	v_sub_f32_e32 v14, v14, v20
	v_sub_f32_e32 v15, v15, v26
	v_add_f32_e32 v20, v29, v30
	v_add_f32_e32 v26, v28, v23
	v_sub_f32_e32 v27, v29, v30
	v_sub_f32_e32 v23, v28, v23
	;; [unrolled: 4-line block ×4, first 2 shown]
	v_sub_f32_e32 v24, v24, v28
	v_sub_f32_e32 v25, v25, v29
	;; [unrolled: 1-line block ×4, first 2 shown]
	v_add_f32_e32 v32, v18, v27
	v_add_f32_e32 v33, v19, v23
	v_sub_f32_e32 v34, v18, v27
	v_sub_f32_e32 v35, v19, v23
	v_add_f32_e32 v21, v28, v21
	v_add_f32_e32 v22, v29, v22
	v_sub_f32_e32 v27, v27, v14
	v_sub_f32_e32 v23, v23, v15
	;; [unrolled: 1-line block ×4, first 2 shown]
	v_add_f32_e32 v28, v32, v14
	v_add_f32_e32 v29, v33, v15
	;; [unrolled: 1-line block ×4, first 2 shown]
	v_mul_f32_e32 v16, 0x3f4a47b2, v24
	v_mul_f32_e32 v17, 0x3f4a47b2, v25
	;; [unrolled: 1-line block ×8, first 2 shown]
	v_fmamk_f32 v21, v21, 0xbf955555, v14
	v_fmamk_f32 v22, v22, 0xbf955555, v15
	;; [unrolled: 1-line block ×4, first 2 shown]
	v_fma_f32 v24, 0x3f3bfb3b, v30, -v24
	v_fma_f32 v25, 0x3f3bfb3b, v31, -v25
	;; [unrolled: 1-line block ×4, first 2 shown]
	v_fmamk_f32 v30, v18, 0xbeae86e6, v32
	v_fmamk_f32 v31, v19, 0xbeae86e6, v33
	v_fma_f32 v27, 0xbf5ff5aa, v27, -v32
	v_fma_f32 v23, 0xbf5ff5aa, v23, -v33
	;; [unrolled: 1-line block ×4, first 2 shown]
	v_add_f32_e32 v34, v20, v21
	v_add_f32_e32 v35, v26, v22
	v_fmac_f32_e32 v30, 0xbee1c552, v28
	v_fmac_f32_e32 v31, 0xbee1c552, v29
	v_add_f32_e32 v24, v24, v21
	v_add_f32_e32 v25, v25, v22
	;; [unrolled: 1-line block ×4, first 2 shown]
	v_fmac_f32_e32 v27, 0xbee1c552, v28
	v_fmac_f32_e32 v33, 0xbee1c552, v29
	;; [unrolled: 1-line block ×4, first 2 shown]
	v_add_f32_e32 v16, v31, v34
	v_sub_f32_e32 v17, v35, v30
	v_add_f32_e32 v18, v33, v26
	v_sub_f32_e32 v19, v36, v32
	v_sub_f32_e32 v20, v24, v23
	v_add_f32_e32 v21, v27, v25
	v_add_f32_e32 v22, v23, v24
	v_sub_f32_e32 v23, v25, v27
	v_sub_f32_e32 v24, v26, v33
	v_add_f32_e32 v25, v32, v36
	v_add_nc_u32_e32 v28, 0x400, v94
	v_sub_f32_e32 v26, v34, v31
	v_add_f32_e32 v27, v30, v35
	s_barrier
	buffer_gl0_inv
	ds_write2_b64 v94, v[14:15], v[16:17] offset1:52
	ds_write2_b64 v94, v[18:19], v[20:21] offset0:104 offset1:156
	ds_write2_b64 v28, v[22:23], v[24:25] offset0:80 offset1:132
	ds_write_b64 v94, v[26:27] offset:2496
	s_and_saveexec_b32 s1, s0
	s_cbranch_execz .LBB0_21
; %bb.20:
	v_mul_f32_e32 v14, v5, v86
	v_mul_f32_e32 v17, v7, v84
	;; [unrolled: 1-line block ×10, first 2 shown]
	v_fmac_f32_e32 v17, v6, v83
	v_fmac_f32_e32 v14, v4, v85
	;; [unrolled: 1-line block ×3, first 2 shown]
	v_fma_f32 v10, v10, v76, -v11
	v_fma_f32 v4, v4, v86, -v5
	v_mul_f32_e32 v1, v1, v79
	v_mul_f32_e32 v3, v3, v81
	v_fma_f32 v5, v8, v57, -v9
	v_fma_f32 v6, v6, v84, -v7
	v_fmac_f32_e32 v15, v2, v81
	v_fmac_f32_e32 v16, v0, v79
	;; [unrolled: 1-line block ×3, first 2 shown]
	v_add_f32_e32 v8, v10, v4
	v_fma_f32 v0, v0, v80, -v1
	v_fma_f32 v2, v2, v82, -v3
	v_add_f32_e32 v9, v5, v6
	v_sub_f32_e32 v20, v15, v16
	v_sub_f32_e32 v21, v17, v18
	;; [unrolled: 1-line block ×3, first 2 shown]
	v_add_f32_e32 v1, v0, v2
	v_add_f32_e32 v3, v9, v8
	v_add_f32_e32 v14, v19, v14
	v_add_f32_e32 v17, v18, v17
	v_add_f32_e32 v15, v16, v15
	v_sub_f32_e32 v24, v8, v1
	v_add_f32_e32 v3, v1, v3
	v_sub_f32_e32 v18, v1, v9
	v_sub_f32_e32 v2, v2, v0
	;; [unrolled: 1-line block ×3, first 2 shown]
	v_mul_f32_e32 v19, 0x3f4a47b2, v24
	v_add_f32_e32 v1, v13, v3
	v_add_f32_e32 v13, v17, v14
	v_sub_f32_e32 v24, v14, v15
	v_sub_f32_e32 v4, v4, v10
	;; [unrolled: 1-line block ×3, first 2 shown]
	v_add_f32_e32 v7, v20, v21
	v_fmamk_f32 v25, v3, 0xbf955555, v1
	v_add_f32_e32 v3, v15, v13
	v_mul_f32_e32 v6, 0x3f4a47b2, v24
	v_sub_f32_e32 v13, v15, v17
	v_sub_f32_e32 v10, v2, v5
	;; [unrolled: 1-line block ×4, first 2 shown]
	v_add_f32_e32 v2, v2, v5
	v_sub_f32_e32 v8, v9, v8
	v_sub_f32_e32 v5, v5, v4
	;; [unrolled: 1-line block ×3, first 2 shown]
	v_mul_f32_e32 v23, 0x3f08b237, v23
	v_mul_f32_e32 v16, 0x3d64c772, v18
	v_fmamk_f32 v18, v18, 0x3d64c772, v19
	v_add_f32_e32 v0, v12, v3
	v_fmamk_f32 v15, v13, 0x3d64c772, v6
	v_mul_f32_e32 v10, 0x3f08b237, v10
	v_mul_f32_e32 v13, 0x3d64c772, v13
	;; [unrolled: 1-line block ×3, first 2 shown]
	v_sub_f32_e32 v9, v17, v14
	v_add_f32_e32 v2, v2, v4
	v_fma_f32 v4, 0xbf3bfb3b, v8, -v19
	v_mul_f32_e32 v14, 0xbf5ff5aa, v5
	v_fmamk_f32 v20, v11, 0xbeae86e6, v23
	v_add_f32_e32 v7, v7, v22
	v_add_f32_e32 v12, v18, v25
	v_fmamk_f32 v18, v3, 0xbf955555, v0
	v_fmamk_f32 v22, v24, 0xbeae86e6, v10
	v_fma_f32 v11, 0x3eae86e6, v11, -v26
	v_fma_f32 v10, 0xbf5ff5aa, v5, -v10
	;; [unrolled: 1-line block ×3, first 2 shown]
	v_mov_b32_e32 v13, 3
	v_fma_f32 v6, 0xbf3bfb3b, v9, -v6
	v_add_f32_e32 v17, v4, v25
	v_fma_f32 v14, 0x3eae86e6, v24, -v14
	v_fma_f32 v4, 0x3f3bfb3b, v8, -v16
	;; [unrolled: 1-line block ×3, first 2 shown]
	v_fmac_f32_e32 v20, 0xbee1c552, v7
	v_add_f32_e32 v15, v15, v18
	v_fmac_f32_e32 v22, 0xbee1c552, v2
	v_fmac_f32_e32 v11, 0xbee1c552, v7
	v_lshlrev_b32_sdwa v16, v13, v91 dst_sel:DWORD dst_unused:UNUSED_PAD src0_sel:DWORD src1_sel:WORD_0
	v_add_f32_e32 v19, v6, v18
	v_fmac_f32_e32 v14, 0xbee1c552, v2
	v_add_f32_e32 v9, v4, v25
	v_fmac_f32_e32 v8, 0xbee1c552, v7
	v_fmac_f32_e32 v10, 0xbee1c552, v2
	v_add_f32_e32 v2, v5, v18
	v_add_f32_e32 v3, v20, v12
	;; [unrolled: 1-line block ×3, first 2 shown]
	v_sub_f32_e32 v11, v17, v11
	v_sub_f32_e32 v13, v12, v20
	v_add_f32_e32 v12, v22, v15
	v_add_nc_u32_e32 v17, 0x2000, v16
	v_sub_f32_e32 v7, v9, v8
	v_add_f32_e32 v6, v10, v2
	v_add_f32_e32 v9, v8, v9
	v_sub_f32_e32 v8, v2, v10
	v_add_f32_e32 v10, v14, v19
	v_sub_f32_e32 v4, v19, v14
	v_add_nc_u32_e32 v14, 0x2800, v16
	v_sub_f32_e32 v2, v15, v22
	ds_write2_b64 v17, v[0:1], v[12:13] offset0:68 offset1:120
	ds_write2_b64 v17, v[10:11], v[8:9] offset0:172 offset1:224
	;; [unrolled: 1-line block ×3, first 2 shown]
	ds_write_b64 v16, v[2:3] offset:11232
.LBB0_21:
	s_or_b32 exec_lo, exec_lo, s1
	v_add_nc_u32_e32 v18, 0x1600, v87
	v_add_nc_u32_e32 v19, 0x2000, v87
	s_waitcnt lgkmcnt(0)
	s_barrier
	buffer_gl0_inv
	ds_read2_b64 v[0:3], v18 offset0:24 offset1:206
	ds_read2_b64 v[4:7], v19 offset0:68 offset1:250
	v_add_nc_u32_e32 v20, 0xa00, v87
	ds_read2_b64 v[8:11], v87 offset1:182
	ds_read2_b64 v[12:15], v20 offset0:44 offset1:226
	s_waitcnt lgkmcnt(0)
	s_barrier
	buffer_gl0_inv
	v_mul_f32_e32 v16, v64, v1
	v_mul_f32_e32 v17, v64, v0
	;; [unrolled: 1-line block ×8, first 2 shown]
	v_fmac_f32_e32 v16, v63, v0
	v_fma_f32 v1, v63, v1, -v17
	v_fmac_f32_e32 v21, v65, v2
	v_fma_f32 v3, v65, v3, -v22
	;; [unrolled: 2-line block ×4, first 2 shown]
	v_sub_f32_e32 v0, v8, v16
	v_sub_f32_e32 v1, v9, v1
	;; [unrolled: 1-line block ×8, first 2 shown]
	v_fma_f32 v8, v8, 2.0, -v0
	v_fma_f32 v9, v9, 2.0, -v1
	;; [unrolled: 1-line block ×8, first 2 shown]
	ds_write2_b64 v87, v[8:9], v[10:11] offset1:182
	ds_write2_b64 v20, v[0:1], v[2:3] offset0:44 offset1:226
	ds_write2_b64 v18, v[12:13], v[14:15] offset0:24 offset1:206
	ds_write2_b64 v19, v[4:5], v[6:7] offset0:68 offset1:250
	s_waitcnt lgkmcnt(0)
	s_barrier
	buffer_gl0_inv
	ds_read2_b64 v[0:3], v18 offset0:24 offset1:206
	ds_read2_b64 v[4:7], v19 offset0:68 offset1:250
	ds_read2_b64 v[8:11], v87 offset1:182
	ds_read2_b64 v[12:15], v20 offset0:44 offset1:226
	s_waitcnt lgkmcnt(3)
	v_mul_f32_e32 v16, v70, v1
	v_mul_f32_e32 v17, v70, v0
	;; [unrolled: 1-line block ×4, first 2 shown]
	s_waitcnt lgkmcnt(2)
	v_mul_f32_e32 v23, v72, v5
	v_mul_f32_e32 v24, v72, v4
	;; [unrolled: 1-line block ×4, first 2 shown]
	v_fmac_f32_e32 v16, v69, v0
	v_fma_f32 v1, v69, v1, -v17
	v_fmac_f32_e32 v21, v67, v2
	v_fma_f32 v3, v67, v3, -v22
	v_fmac_f32_e32 v23, v71, v4
	v_fma_f32 v5, v71, v5, -v24
	v_fmac_f32_e32 v25, v73, v6
	v_fma_f32 v17, v73, v7, -v26
	s_waitcnt lgkmcnt(1)
	v_sub_f32_e32 v0, v8, v16
	v_sub_f32_e32 v1, v9, v1
	;; [unrolled: 1-line block ×4, first 2 shown]
	s_waitcnt lgkmcnt(0)
	v_sub_f32_e32 v4, v12, v23
	v_sub_f32_e32 v5, v13, v5
	;; [unrolled: 1-line block ×4, first 2 shown]
	v_fma_f32 v6, v8, 2.0, -v0
	v_fma_f32 v7, v9, 2.0, -v1
	;; [unrolled: 1-line block ×8, first 2 shown]
	ds_write2_b64 v87, v[6:7], v[8:9] offset1:182
	ds_write2_b64 v18, v[0:1], v[2:3] offset0:24 offset1:206
	ds_write2_b64 v20, v[10:11], v[12:13] offset0:44 offset1:226
	;; [unrolled: 1-line block ×3, first 2 shown]
	s_waitcnt lgkmcnt(0)
	s_barrier
	buffer_gl0_inv
	s_and_b32 exec_lo, exec_lo, vcc_lo
	s_cbranch_execz .LBB0_23
; %bb.22:
	v_add_co_u32 v6, s0, s14, v87
	v_add_co_ci_u32_e64 v7, null, s15, 0, s0
	v_lshlrev_b32_e32 v2, 3, v88
	v_add_co_u32 v0, vcc_lo, 0x800, v6
	v_add_co_ci_u32_e32 v1, vcc_lo, 0, v7, vcc_lo
	s_clause 0x2
	global_load_dwordx2 v[24:25], v87, s[14:15]
	global_load_dwordx2 v[26:27], v87, s[14:15] offset:896
	global_load_dwordx2 v[28:29], v87, s[14:15] offset:1792
	s_mul_i32 s0, s5, 0x380
	s_mul_hi_u32 s1, s4, 0x380
	s_clause 0x2
	global_load_dwordx2 v[30:31], v[0:1], off offset:640
	global_load_dwordx2 v[32:33], v[0:1], off offset:1536
	global_load_dwordx2 v[34:35], v2, s[14:15]
	v_add_co_u32 v0, vcc_lo, 0x1000, v6
	v_add_co_ci_u32_e32 v1, vcc_lo, 0, v7, vcc_lo
	v_add_co_u32 v2, vcc_lo, 0x1800, v6
	v_add_co_ci_u32_e32 v3, vcc_lo, 0, v7, vcc_lo
	;; [unrolled: 2-line block ×3, first 2 shown]
	s_clause 0x4
	global_load_dwordx2 v[36:37], v[0:1], off offset:384
	global_load_dwordx2 v[38:39], v[0:1], off offset:1280
	;; [unrolled: 1-line block ×5, first 2 shown]
	v_add_co_u32 v0, vcc_lo, 0x2800, v6
	v_add_co_ci_u32_e32 v1, vcc_lo, 0, v7, vcc_lo
	s_clause 0x1
	global_load_dwordx2 v[46:47], v[4:5], off offset:1664
	global_load_dwordx2 v[48:49], v[0:1], off offset:512
	v_mad_u64_u32 v[0:1], null, s6, v58, 0
	v_mad_u64_u32 v[2:3], null, s4, v89, 0
	s_mul_i32 s2, s4, 0x380
	s_add_i32 s3, s1, s0
	v_mad_u64_u32 v[66:67], null, s4, v88, 0
	ds_read_b64 v[70:71], v87
	v_add_nc_u32_e32 v8, 0x1000, v87
	v_mad_u64_u32 v[4:5], null, s7, v58, v[1:2]
	v_add_nc_u32_e32 v16, 0x1c00, v87
	v_add_nc_u32_e32 v20, 0x2400, v87
	s_mov_b32 s0, 0x16816817
	s_mov_b32 s1, 0x3f468168
	v_mad_u64_u32 v[5:6], null, s5, v89, v[3:4]
	v_mov_b32_e32 v1, v4
	v_mov_b32_e32 v4, v67
	v_add_nc_u32_e32 v6, 0x800, v87
	v_lshlrev_b64 v[0:1], 3, v[0:1]
	v_mov_b32_e32 v3, v5
	v_lshlrev_b64 v[2:3], 3, v[2:3]
	v_add_co_u32 v74, vcc_lo, s12, v0
	v_add_co_ci_u32_e32 v75, vcc_lo, s13, v1, vcc_lo
	v_add_co_u32 v50, vcc_lo, v74, v2
	v_add_co_ci_u32_e32 v51, vcc_lo, v75, v3, vcc_lo
	ds_read2_b64 v[0:3], v87 offset0:112 offset1:224
	v_add_co_u32 v52, vcc_lo, v50, s2
	v_add_co_ci_u32_e32 v53, vcc_lo, s3, v51, vcc_lo
	v_add_co_u32 v54, vcc_lo, v52, s2
	v_add_co_ci_u32_e32 v55, vcc_lo, s3, v53, vcc_lo
	;; [unrolled: 2-line block ×7, first 2 shown]
	v_mad_u64_u32 v[68:69], null, 0x700, s4, v[64:65]
	v_mov_b32_e32 v5, v69
	v_mad_u64_u32 v[12:13], null, s5, v88, v[4:5]
	v_add_nc_u32_e32 v13, 0x1800, v87
	v_mad_u64_u32 v[72:73], null, 0x700, s5, v[5:6]
	ds_read2_b64 v[4:7], v6 offset0:80 offset1:192
	ds_read2_b64 v[8:11], v8 offset0:48 offset1:160
	v_mov_b32_e32 v67, v12
	ds_read2_b64 v[12:15], v13 offset0:16 offset1:128
	ds_read2_b64 v[16:19], v16 offset0:112 offset1:224
	;; [unrolled: 1-line block ×3, first 2 shown]
	v_mov_b32_e32 v69, v72
	v_add_co_u32 v72, vcc_lo, v68, s2
	v_lshlrev_b64 v[66:67], 3, v[66:67]
	v_add_co_ci_u32_e32 v73, vcc_lo, s3, v69, vcc_lo
	s_waitcnt vmcnt(12) lgkmcnt(6)
	v_mul_f32_e32 v76, v71, v25
	v_mul_f32_e32 v25, v70, v25
	s_waitcnt vmcnt(11) lgkmcnt(5)
	v_mul_f32_e32 v77, v1, v27
	s_waitcnt vmcnt(10)
	v_mul_f32_e32 v78, v3, v29
	v_mul_f32_e32 v27, v0, v27
	v_fmac_f32_e32 v76, v70, v24
	v_mul_f32_e32 v29, v2, v29
	v_fma_f32 v24, v24, v71, -v25
	v_fmac_f32_e32 v77, v0, v26
	v_fmac_f32_e32 v78, v2, v28
	v_fma_f32 v26, v26, v1, -v27
	s_waitcnt vmcnt(7) lgkmcnt(2)
	v_mul_f32_e32 v79, v15, v35
	v_mul_f32_e32 v35, v14, v35
	v_cvt_f64_f32_e32 v[0:1], v76
	v_mul_f32_e32 v76, v5, v31
	v_mul_f32_e32 v31, v4, v31
	v_fma_f32 v70, v28, v3, -v29
	v_cvt_f64_f32_e32 v[2:3], v24
	v_cvt_f64_f32_e32 v[24:25], v77
	v_mul_f32_e32 v77, v7, v33
	v_mul_f32_e32 v33, v6, v33
	v_cvt_f64_f32_e32 v[28:29], v78
	s_waitcnt vmcnt(6)
	v_mul_f32_e32 v78, v9, v37
	v_mul_f32_e32 v37, v8, v37
	s_waitcnt vmcnt(5)
	v_mul_f32_e32 v80, v11, v39
	v_mul_f32_e32 v39, v10, v39
	;; [unrolled: 3-line block ×3, first 2 shown]
	v_fmac_f32_e32 v79, v14, v34
	v_fma_f32 v14, v34, v15, -v35
	v_fmac_f32_e32 v76, v4, v30
	v_fma_f32 v30, v30, v5, -v31
	s_waitcnt vmcnt(2) lgkmcnt(1)
	v_mul_f32_e32 v34, v17, v45
	v_mul_f32_e32 v15, v16, v45
	v_fmac_f32_e32 v77, v6, v32
	v_fma_f32 v31, v32, v7, -v33
	v_mul_f32_e32 v45, v19, v43
	v_mul_f32_e32 v35, v18, v43
	v_fmac_f32_e32 v78, v8, v36
	v_fma_f32 v32, v36, v9, -v37
	v_cvt_f64_f32_e32 v[26:27], v26
	s_waitcnt vmcnt(1) lgkmcnt(0)
	v_mul_f32_e32 v43, v21, v47
	v_mul_f32_e32 v47, v20, v47
	s_waitcnt vmcnt(0)
	v_mul_f32_e32 v82, v23, v49
	v_mul_f32_e32 v49, v22, v49
	v_fmac_f32_e32 v80, v10, v38
	v_fma_f32 v33, v38, v11, -v39
	v_cvt_f64_f32_e32 v[70:71], v70
	v_fmac_f32_e32 v81, v12, v40
	v_fma_f32 v36, v40, v13, -v41
	v_cvt_f64_f32_e32 v[4:5], v79
	v_cvt_f64_f32_e32 v[6:7], v14
	;; [unrolled: 1-line block ×4, first 2 shown]
	v_fmac_f32_e32 v34, v16, v44
	v_fma_f32 v37, v44, v17, -v15
	v_cvt_f64_f32_e32 v[12:13], v77
	v_cvt_f64_f32_e32 v[14:15], v31
	v_fmac_f32_e32 v45, v18, v42
	v_fma_f32 v40, v42, v19, -v35
	v_cvt_f64_f32_e32 v[16:17], v78
	v_cvt_f64_f32_e32 v[18:19], v32
	v_fmac_f32_e32 v43, v20, v46
	v_fma_f32 v44, v46, v21, -v47
	v_fmac_f32_e32 v82, v22, v48
	v_fma_f32 v48, v48, v23, -v49
	v_cvt_f64_f32_e32 v[20:21], v80
	v_cvt_f64_f32_e32 v[22:23], v33
	;; [unrolled: 1-line block ×12, first 2 shown]
	v_mul_f64 v[0:1], v[0:1], s[0:1]
	v_mul_f64 v[2:3], v[2:3], s[0:1]
	;; [unrolled: 1-line block ×26, first 2 shown]
	v_cvt_f32_f64_e32 v0, v[0:1]
	v_cvt_f32_f64_e32 v1, v[2:3]
	;; [unrolled: 1-line block ×26, first 2 shown]
	v_add_co_u32 v26, vcc_lo, v72, s2
	v_add_co_ci_u32_e32 v27, vcc_lo, s3, v73, vcc_lo
	v_add_co_u32 v28, vcc_lo, v74, v66
	v_add_co_ci_u32_e32 v29, vcc_lo, v75, v67, vcc_lo
	;; [unrolled: 2-line block ×3, first 2 shown]
	global_store_dwordx2 v[50:51], v[0:1], off
	global_store_dwordx2 v[52:53], v[2:3], off
	;; [unrolled: 1-line block ×13, first 2 shown]
.LBB0_23:
	s_endpgm
	.section	.rodata,"a",@progbits
	.p2align	6, 0x0
	.amdhsa_kernel bluestein_single_fwd_len1456_dim1_sp_op_CI_CI
		.amdhsa_group_segment_fixed_size 11648
		.amdhsa_private_segment_fixed_size 0
		.amdhsa_kernarg_size 104
		.amdhsa_user_sgpr_count 6
		.amdhsa_user_sgpr_private_segment_buffer 1
		.amdhsa_user_sgpr_dispatch_ptr 0
		.amdhsa_user_sgpr_queue_ptr 0
		.amdhsa_user_sgpr_kernarg_segment_ptr 1
		.amdhsa_user_sgpr_dispatch_id 0
		.amdhsa_user_sgpr_flat_scratch_init 0
		.amdhsa_user_sgpr_private_segment_size 0
		.amdhsa_wavefront_size32 1
		.amdhsa_uses_dynamic_stack 0
		.amdhsa_system_sgpr_private_segment_wavefront_offset 0
		.amdhsa_system_sgpr_workgroup_id_x 1
		.amdhsa_system_sgpr_workgroup_id_y 0
		.amdhsa_system_sgpr_workgroup_id_z 0
		.amdhsa_system_sgpr_workgroup_info 0
		.amdhsa_system_vgpr_workitem_id 0
		.amdhsa_next_free_vgpr 238
		.amdhsa_next_free_sgpr 16
		.amdhsa_reserve_vcc 1
		.amdhsa_reserve_flat_scratch 0
		.amdhsa_float_round_mode_32 0
		.amdhsa_float_round_mode_16_64 0
		.amdhsa_float_denorm_mode_32 3
		.amdhsa_float_denorm_mode_16_64 3
		.amdhsa_dx10_clamp 1
		.amdhsa_ieee_mode 1
		.amdhsa_fp16_overflow 0
		.amdhsa_workgroup_processor_mode 1
		.amdhsa_memory_ordered 1
		.amdhsa_forward_progress 0
		.amdhsa_shared_vgpr_count 0
		.amdhsa_exception_fp_ieee_invalid_op 0
		.amdhsa_exception_fp_denorm_src 0
		.amdhsa_exception_fp_ieee_div_zero 0
		.amdhsa_exception_fp_ieee_overflow 0
		.amdhsa_exception_fp_ieee_underflow 0
		.amdhsa_exception_fp_ieee_inexact 0
		.amdhsa_exception_int_div_zero 0
	.end_amdhsa_kernel
	.text
.Lfunc_end0:
	.size	bluestein_single_fwd_len1456_dim1_sp_op_CI_CI, .Lfunc_end0-bluestein_single_fwd_len1456_dim1_sp_op_CI_CI
                                        ; -- End function
	.section	.AMDGPU.csdata,"",@progbits
; Kernel info:
; codeLenInByte = 15236
; NumSgprs: 18
; NumVgprs: 238
; ScratchSize: 0
; MemoryBound: 0
; FloatMode: 240
; IeeeMode: 1
; LDSByteSize: 11648 bytes/workgroup (compile time only)
; SGPRBlocks: 2
; VGPRBlocks: 29
; NumSGPRsForWavesPerEU: 18
; NumVGPRsForWavesPerEU: 238
; Occupancy: 4
; WaveLimiterHint : 1
; COMPUTE_PGM_RSRC2:SCRATCH_EN: 0
; COMPUTE_PGM_RSRC2:USER_SGPR: 6
; COMPUTE_PGM_RSRC2:TRAP_HANDLER: 0
; COMPUTE_PGM_RSRC2:TGID_X_EN: 1
; COMPUTE_PGM_RSRC2:TGID_Y_EN: 0
; COMPUTE_PGM_RSRC2:TGID_Z_EN: 0
; COMPUTE_PGM_RSRC2:TIDIG_COMP_CNT: 0
	.text
	.p2alignl 6, 3214868480
	.fill 48, 4, 3214868480
	.type	__hip_cuid_319938d8776efd93,@object ; @__hip_cuid_319938d8776efd93
	.section	.bss,"aw",@nobits
	.globl	__hip_cuid_319938d8776efd93
__hip_cuid_319938d8776efd93:
	.byte	0                               ; 0x0
	.size	__hip_cuid_319938d8776efd93, 1

	.ident	"AMD clang version 19.0.0git (https://github.com/RadeonOpenCompute/llvm-project roc-6.4.0 25133 c7fe45cf4b819c5991fe208aaa96edf142730f1d)"
	.section	".note.GNU-stack","",@progbits
	.addrsig
	.addrsig_sym __hip_cuid_319938d8776efd93
	.amdgpu_metadata
---
amdhsa.kernels:
  - .args:
      - .actual_access:  read_only
        .address_space:  global
        .offset:         0
        .size:           8
        .value_kind:     global_buffer
      - .actual_access:  read_only
        .address_space:  global
        .offset:         8
        .size:           8
        .value_kind:     global_buffer
      - .actual_access:  read_only
        .address_space:  global
        .offset:         16
        .size:           8
        .value_kind:     global_buffer
      - .actual_access:  read_only
        .address_space:  global
        .offset:         24
        .size:           8
        .value_kind:     global_buffer
      - .actual_access:  read_only
        .address_space:  global
        .offset:         32
        .size:           8
        .value_kind:     global_buffer
      - .offset:         40
        .size:           8
        .value_kind:     by_value
      - .address_space:  global
        .offset:         48
        .size:           8
        .value_kind:     global_buffer
      - .address_space:  global
        .offset:         56
        .size:           8
        .value_kind:     global_buffer
      - .address_space:  global
        .offset:         64
        .size:           8
        .value_kind:     global_buffer
      - .address_space:  global
        .offset:         72
        .size:           8
        .value_kind:     global_buffer
      - .offset:         80
        .size:           4
        .value_kind:     by_value
      - .address_space:  global
        .offset:         88
        .size:           8
        .value_kind:     global_buffer
      - .address_space:  global
        .offset:         96
        .size:           8
        .value_kind:     global_buffer
    .group_segment_fixed_size: 11648
    .kernarg_segment_align: 8
    .kernarg_segment_size: 104
    .language:       OpenCL C
    .language_version:
      - 2
      - 0
    .max_flat_workgroup_size: 182
    .name:           bluestein_single_fwd_len1456_dim1_sp_op_CI_CI
    .private_segment_fixed_size: 0
    .sgpr_count:     18
    .sgpr_spill_count: 0
    .symbol:         bluestein_single_fwd_len1456_dim1_sp_op_CI_CI.kd
    .uniform_work_group_size: 1
    .uses_dynamic_stack: false
    .vgpr_count:     238
    .vgpr_spill_count: 0
    .wavefront_size: 32
    .workgroup_processor_mode: 1
amdhsa.target:   amdgcn-amd-amdhsa--gfx1030
amdhsa.version:
  - 1
  - 2
...

	.end_amdgpu_metadata
